;; amdgpu-corpus repo=ROCm/rocFFT kind=compiled arch=gfx906 opt=O3
	.text
	.amdgcn_target "amdgcn-amd-amdhsa--gfx906"
	.amdhsa_code_object_version 6
	.protected	fft_rtc_back_len289_factors_17_17_wgs_119_tpt_17_half_op_CI_CI_sbrc_z_xy_unaligned_dirReg ; -- Begin function fft_rtc_back_len289_factors_17_17_wgs_119_tpt_17_half_op_CI_CI_sbrc_z_xy_unaligned_dirReg
	.globl	fft_rtc_back_len289_factors_17_17_wgs_119_tpt_17_half_op_CI_CI_sbrc_z_xy_unaligned_dirReg
	.p2align	8
	.type	fft_rtc_back_len289_factors_17_17_wgs_119_tpt_17_half_op_CI_CI_sbrc_z_xy_unaligned_dirReg,@function
fft_rtc_back_len289_factors_17_17_wgs_119_tpt_17_half_op_CI_CI_sbrc_z_xy_unaligned_dirReg: ; @fft_rtc_back_len289_factors_17_17_wgs_119_tpt_17_half_op_CI_CI_sbrc_z_xy_unaligned_dirReg
; %bb.0:
	s_load_dwordx8 s[8:15], s[4:5], 0x8
	s_waitcnt lgkmcnt(0)
	s_load_dwordx4 s[16:19], s[10:11], 0x8
	s_load_dwordx4 s[20:23], s[12:13], 0x0
	s_load_dword s3, s[12:13], 0x10
	s_waitcnt lgkmcnt(0)
	s_add_i32 s0, s16, -1
	s_mul_hi_u32 s1, s0, 0x24924925
	s_sub_i32 s0, s0, s1
	s_lshr_b32 s0, s0, 1
	s_add_i32 s0, s0, s1
	s_lshr_b32 s0, s0, 2
	s_add_i32 s1, s0, 1
	s_mul_i32 s2, s1, s18
	v_cvt_f32_u32_e32 v2, s2
	v_cvt_f32_u32_e32 v1, s1
	s_sub_i32 s7, 0, s2
	v_rcp_iflag_f32_e32 v2, v2
	v_rcp_iflag_f32_e32 v1, v1
	v_mul_f32_e32 v2, 0x4f7ffffe, v2
	v_cvt_u32_f32_e32 v2, v2
	v_mul_f32_e32 v1, 0x4f7ffffe, v1
	v_cvt_u32_f32_e32 v1, v1
	v_readfirstlane_b32 s11, v2
	s_mul_i32 s7, s7, s11
	s_mul_hi_u32 s7, s11, s7
	s_add_i32 s11, s11, s7
	s_mul_hi_u32 s7, s6, s11
	s_mul_i32 s11, s7, s2
	s_sub_i32 s11, s6, s11
	s_add_i32 s17, s7, 1
	s_sub_i32 s18, s11, s2
	s_cmp_ge_u32 s11, s2
	s_cselect_b32 s7, s17, s7
	s_cselect_b32 s11, s18, s11
	s_add_i32 s17, s7, 1
	s_cmp_ge_u32 s11, s2
	v_readfirstlane_b32 s10, v1
	s_cselect_b32 s17, s17, s7
	s_not_b32 s0, s0
	s_mul_i32 s0, s0, s10
	s_mul_i32 s2, s17, s2
	s_mul_hi_u32 s0, s10, s0
	s_sub_i32 s2, s6, s2
	s_add_i32 s10, s10, s0
	s_mul_hi_u32 s0, s2, s10
	s_mul_i32 s7, s0, s1
	s_sub_i32 s2, s2, s7
	s_add_i32 s11, s0, 1
	s_sub_i32 s7, s2, s1
	s_cmp_ge_u32 s2, s1
	s_cselect_b32 s0, s11, s0
	s_cselect_b32 s2, s7, s2
	s_add_i32 s7, s0, 1
	s_cmp_ge_u32 s2, s1
	s_cselect_b32 s23, s7, s0
	s_mul_hi_u32 s0, s6, s10
	s_mul_i32 s0, s0, s1
	s_sub_i32 s0, s6, s0
	s_sub_i32 s2, s0, s1
	s_cmp_ge_u32 s0, s1
	s_cselect_b32 s0, s2, s0
	s_sub_i32 s2, s0, s1
	s_cmp_ge_u32 s0, s1
	s_cselect_b32 s24, s2, s0
	s_mul_i32 s24, s24, 7
	s_mul_i32 s0, s23, s3
	;; [unrolled: 1-line block ×3, first 2 shown]
	s_add_i32 s10, s1, s0
	s_lshl_b64 s[0:1], s[8:9], 3
	s_add_u32 s2, s12, s0
	s_addc_u32 s3, s13, s1
	s_load_dwordx2 s[8:9], s[2:3], 0x0
	s_load_dwordx2 s[12:13], s[4:5], 0x58
	;; [unrolled: 1-line block ×3, first 2 shown]
	s_waitcnt lgkmcnt(0)
	s_mul_i32 s2, s9, s17
	s_mul_hi_u32 s3, s8, s17
	s_add_i32 s3, s3, s2
	s_mul_i32 s2, s8, s17
	s_add_u32 s18, s2, s10
	s_addc_u32 s19, s3, 0
	s_add_u32 s10, s14, s0
	s_addc_u32 s11, s15, s1
	s_load_dwordx4 s[0:3], s[14:15], 0x0
	s_load_dwordx2 s[8:9], s[10:11], 0x0
	s_waitcnt lgkmcnt(0)
	s_add_i32 s3, s24, 7
	s_cmp_le_u32 s3, s16
	s_cselect_b64 s[10:11], -1, 0
	s_mov_b64 s[14:15], -1
	s_and_b64 vcc, exec, s[10:11]
	s_cbranch_vccnz .LBB0_4
; %bb.1:
	s_lshl_b64 s[14:15], s[18:19], 2
	s_add_u32 s3, s12, s14
	s_addc_u32 s25, s13, s15
	s_mov_b64 s[14:15], 0
	s_mov_b32 s7, 0xe2c5
	v_mov_b32_e32 v2, 0
	v_mov_b32_e32 v3, s25
	s_movk_i32 s25, 0x7e6
	v_mov_b32_e32 v4, v0
.LBB0_2:                                ; =>This Inner Loop Header: Depth=1
	v_mul_u32_u24_sdwa v1, v4, s7 dst_sel:DWORD dst_unused:UNUSED_PAD src0_sel:WORD_0 src1_sel:DWORD
	v_lshrrev_b32_e32 v11, 24, v1
	v_mul_lo_u16_e32 v5, 0x121, v11
	v_sub_u16_e32 v12, v4, v5
	v_mul_lo_u32 v1, s22, v11
	v_mad_u64_u32 v[5:6], s[26:27], s20, v12, 0
	v_add_u32_e32 v4, 0x77, v4
	v_lshlrev_b64 v[7:8], 2, v[1:2]
	v_mov_b32_e32 v1, v6
	v_mad_u64_u32 v[9:10], s[26:27], s21, v12, v[1:2]
	v_mov_b32_e32 v6, v9
	v_lshlrev_b64 v[5:6], 2, v[5:6]
	v_add_co_u32_e32 v1, vcc, s3, v5
	v_addc_co_u32_e32 v6, vcc, v3, v6, vcc
	v_add_co_u32_e32 v5, vcc, v1, v7
	v_addc_co_u32_e32 v6, vcc, v6, v8, vcc
	global_load_dword v1, v[5:6], off
	v_mad_legacy_u16 v5, v12, 7, v11
	v_cmp_lt_u32_e32 vcc, s25, v4
	v_lshl_add_u32 v5, v5, 2, 0
	s_or_b64 s[14:15], vcc, s[14:15]
	s_waitcnt vmcnt(0)
	ds_write_b32 v5, v1
	s_andn2_b64 exec, exec, s[14:15]
	s_cbranch_execnz .LBB0_2
; %bb.3:
	s_or_b64 exec, exec, s[14:15]
	s_mov_b64 s[14:15], 0
.LBB0_4:
	s_and_b64 vcc, exec, s[14:15]
	s_cbranch_vccz .LBB0_6
; %bb.5:
	v_and_b32_e32 v3, 0xffff, v0
	v_mad_u64_u32 v[1:2], s[14:15], s20, v3, 0
	s_lshl_b64 s[14:15], s[18:19], 2
	s_add_u32 s3, s12, s14
	v_mad_u64_u32 v[2:3], s[18:19], s21, v3, v[2:3]
	v_add_u16_e32 v4, 0x77, v0
	s_addc_u32 s7, s13, s15
	v_mad_u64_u32 v[5:6], s[12:13], s20, v4, 0
	v_lshlrev_b64 v[1:2], 2, v[1:2]
	v_mov_b32_e32 v3, s7
	v_add_co_u32_e32 v11, vcc, s3, v1
	v_mov_b32_e32 v1, v6
	v_addc_co_u32_e32 v12, vcc, v3, v2, vcc
	v_mad_u64_u32 v[1:2], s[12:13], s21, v4, v[1:2]
	v_add_u16_e32 v2, 0xee, v0
	v_mul_u32_u24_e32 v3, 0xe3, v2
	v_lshrrev_b32_e32 v3, 16, v3
	v_mul_lo_u16_e32 v4, 0x121, v3
	v_sub_u16_e32 v4, v2, v4
	v_mad_u64_u32 v[7:8], s[12:13], s20, v4, 0
	v_mov_b32_e32 v6, v1
	v_lshlrev_b64 v[1:2], 2, v[5:6]
	v_mov_b32_e32 v5, v8
	v_mad_u64_u32 v[5:6], s[12:13], s21, v4, v[5:6]
	v_add_u16_e32 v6, 0x165, v0
	v_mov_b32_e32 v9, s7
	v_mov_b32_e32 v8, v5
	v_mul_u32_u24_e32 v5, 0xe3, v6
	v_add_co_u32_e32 v13, vcc, s3, v1
	v_lshrrev_b32_e32 v5, 16, v5
	v_addc_co_u32_e32 v14, vcc, v9, v2, vcc
	v_mul_lo_u16_e32 v9, 0x121, v5
	v_sub_u16_e32 v6, v6, v9
	v_mul_lo_u32 v1, s22, v3
	v_mad_u64_u32 v[9:10], s[12:13], s20, v6, 0
	v_lshlrev_b64 v[7:8], 2, v[7:8]
	v_mov_b32_e32 v2, 0
	v_mov_b32_e32 v15, s7
	v_add_co_u32_e32 v17, vcc, s3, v7
	v_addc_co_u32_e32 v18, vcc, v15, v8, vcc
	v_lshlrev_b64 v[7:8], 2, v[1:2]
	v_mov_b32_e32 v1, v10
	v_mad_u64_u32 v[15:16], s[12:13], s21, v6, v[1:2]
	v_add_co_u32_e32 v16, vcc, v17, v7
	v_addc_co_u32_e32 v17, vcc, v18, v8, vcc
	v_add_u16_e32 v8, 0x1dc, v0
	v_mul_u32_u24_e32 v7, 0xe3, v8
	v_lshrrev_b32_e32 v7, 16, v7
	v_mul_lo_u16_e32 v18, 0x121, v7
	v_sub_u16_e32 v8, v8, v18
	v_mov_b32_e32 v10, v15
	v_mul_lo_u32 v1, s22, v5
	v_mad_u64_u32 v[18:19], s[12:13], s20, v8, 0
	v_lshlrev_b64 v[9:10], 2, v[9:10]
	v_mov_b32_e32 v15, s7
	v_add_co_u32_e32 v21, vcc, s3, v9
	v_addc_co_u32_e32 v15, vcc, v15, v10, vcc
	v_lshlrev_b64 v[9:10], 2, v[1:2]
	v_mov_b32_e32 v1, v19
	v_mad_u64_u32 v[19:20], s[12:13], s21, v8, v[1:2]
	v_add_co_u32_e32 v20, vcc, v21, v9
	v_addc_co_u32_e32 v21, vcc, v15, v10, vcc
	v_add_u16_e32 v10, 0x253, v0
	v_mul_u32_u24_e32 v9, 0xe3, v10
	v_lshrrev_b32_e32 v9, 16, v9
	v_mul_lo_u16_e32 v22, 0x121, v9
	v_sub_u16_e32 v10, v10, v22
	v_mul_lo_u32 v1, s22, v7
	v_mad_u64_u32 v[22:23], s[12:13], s20, v10, 0
	v_lshlrev_b64 v[18:19], 2, v[18:19]
	v_mov_b32_e32 v15, s7
	v_add_co_u32_e32 v25, vcc, s3, v18
	v_addc_co_u32_e32 v15, vcc, v15, v19, vcc
	v_lshlrev_b64 v[18:19], 2, v[1:2]
	v_mov_b32_e32 v1, v23
	v_mad_u64_u32 v[23:24], s[12:13], s21, v10, v[1:2]
	v_add_u16_e32 v24, 0x2ca, v0
	v_add_co_u32_e32 v18, vcc, v25, v18
	v_mul_u32_u24_e32 v25, 0xe3, v24
	v_lshrrev_b32_e32 v31, 16, v25
	v_mul_lo_u16_e32 v25, 0x121, v31
	v_sub_u16_e32 v32, v24, v25
	v_mul_lo_u32 v1, s22, v9
	v_mad_u64_u32 v[24:25], s[12:13], s20, v32, 0
	v_lshlrev_b64 v[22:23], 2, v[22:23]
	v_addc_co_u32_e32 v19, vcc, v15, v19, vcc
	v_mov_b32_e32 v15, s7
	v_add_co_u32_e32 v27, vcc, s3, v22
	v_addc_co_u32_e32 v15, vcc, v15, v23, vcc
	v_lshlrev_b64 v[22:23], 2, v[1:2]
	v_mov_b32_e32 v1, v25
	v_mad_u64_u32 v[25:26], s[12:13], s21, v32, v[1:2]
	v_add_u16_e32 v26, 0x341, v0
	v_add_co_u32_e32 v22, vcc, v27, v22
	v_mul_u32_u24_e32 v27, 0xe3, v26
	v_lshrrev_b32_e32 v33, 16, v27
	v_mul_lo_u16_e32 v27, 0x121, v33
	v_sub_u16_e32 v34, v26, v27
	v_mul_lo_u32 v1, s22, v31
	v_mad_u64_u32 v[26:27], s[12:13], s20, v34, 0
	v_lshlrev_b64 v[24:25], 2, v[24:25]
	v_addc_co_u32_e32 v23, vcc, v15, v23, vcc
	v_mov_b32_e32 v15, s7
	v_add_co_u32_e32 v29, vcc, s3, v24
	v_addc_co_u32_e32 v15, vcc, v15, v25, vcc
	v_lshlrev_b64 v[24:25], 2, v[1:2]
	v_mov_b32_e32 v1, v27
	v_mad_u64_u32 v[27:28], s[12:13], s21, v34, v[1:2]
	v_mul_lo_u32 v1, s22, v33
	v_add_co_u32_e32 v24, vcc, v29, v24
	v_lshlrev_b64 v[26:27], 2, v[26:27]
	v_addc_co_u32_e32 v25, vcc, v15, v25, vcc
	v_mov_b32_e32 v15, s7
	v_add_co_u32_e32 v30, vcc, s3, v26
	v_addc_co_u32_e32 v15, vcc, v15, v27, vcc
	v_lshlrev_b64 v[26:27], 2, v[1:2]
	v_add_u16_e32 v1, 0x3b8, v0
	v_mul_u32_u24_e32 v28, 0x717, v1
	v_lshrrev_b32_e32 v35, 19, v28
	v_mul_lo_u16_e32 v28, 0x121, v35
	v_sub_u16_e32 v36, v1, v28
	v_mad_u64_u32 v[28:29], s[12:13], s20, v36, 0
	v_add_co_u32_e32 v26, vcc, v30, v26
	v_mov_b32_e32 v1, v29
	v_mad_u64_u32 v[29:30], s[12:13], s21, v36, v[1:2]
	v_addc_co_u32_e32 v27, vcc, v15, v27, vcc
	global_load_dword v30, v[11:12], off
	global_load_dword v37, v[13:14], off
	;; [unrolled: 1-line block ×8, first 2 shown]
	v_add_u16_e32 v13, 0x42f, v0
	v_mul_u32_u24_e32 v14, 0x717, v13
	v_lshlrev_b64 v[11:12], 2, v[28:29]
	v_lshrrev_b32_e32 v29, 19, v14
	v_mul_lo_u16_e32 v14, 0x121, v29
	v_sub_u16_e32 v44, v13, v14
	v_mul_lo_u32 v1, s22, v35
	v_mad_u64_u32 v[13:14], s[12:13], s20, v44, 0
	v_mov_b32_e32 v15, s7
	v_add_co_u32_e32 v16, vcc, s3, v11
	v_addc_co_u32_e32 v17, vcc, v15, v12, vcc
	v_lshlrev_b64 v[11:12], 2, v[1:2]
	v_mov_b32_e32 v1, v14
	v_mad_u64_u32 v[14:15], s[12:13], s21, v44, v[1:2]
	v_add_u16_e32 v15, 0x4a6, v0
	v_add_co_u32_e32 v11, vcc, v16, v11
	v_mul_u32_u24_e32 v16, 0x717, v15
	v_lshrrev_b32_e32 v45, 19, v16
	v_mul_lo_u16_e32 v16, 0x121, v45
	v_sub_u16_e32 v46, v15, v16
	v_mul_lo_u32 v1, s22, v29
	v_mad_u64_u32 v[15:16], s[12:13], s20, v46, 0
	v_lshlrev_b64 v[13:14], 2, v[13:14]
	v_addc_co_u32_e32 v12, vcc, v17, v12, vcc
	v_mov_b32_e32 v17, s7
	v_add_co_u32_e32 v18, vcc, s3, v13
	v_addc_co_u32_e32 v19, vcc, v17, v14, vcc
	v_lshlrev_b64 v[13:14], 2, v[1:2]
	v_mov_b32_e32 v1, v16
	v_mad_u64_u32 v[16:17], s[12:13], s21, v46, v[1:2]
	v_add_u16_e32 v17, 0x51d, v0
	v_add_co_u32_e32 v13, vcc, v18, v13
	v_mul_u32_u24_e32 v18, 0x717, v17
	v_lshrrev_b32_e32 v47, 19, v18
	v_mul_lo_u16_e32 v18, 0x121, v47
	v_sub_u16_e32 v48, v17, v18
	v_mul_lo_u32 v1, s22, v45
	v_mad_u64_u32 v[17:18], s[12:13], s20, v48, 0
	v_lshlrev_b64 v[15:16], 2, v[15:16]
	v_addc_co_u32_e32 v14, vcc, v19, v14, vcc
	;; [unrolled: 16-line block ×6, first 2 shown]
	v_mov_b32_e32 v27, s7
	v_add_co_u32_e32 v28, vcc, s3, v23
	v_addc_co_u32_e32 v57, vcc, v27, v24, vcc
	v_lshlrev_b64 v[23:24], 2, v[1:2]
	v_mov_b32_e32 v1, v26
	v_mad_u64_u32 v[26:27], s[12:13], s21, v56, v[1:2]
	v_mul_lo_u32 v1, s22, v55
	v_add_co_u32_e32 v23, vcc, v28, v23
	v_lshlrev_b64 v[25:26], 2, v[25:26]
	v_addc_co_u32_e32 v24, vcc, v57, v24, vcc
	v_mov_b32_e32 v27, s7
	v_add_co_u32_e32 v57, vcc, s3, v25
	v_addc_co_u32_e32 v58, vcc, v27, v26, vcc
	v_lshlrev_b64 v[25:26], 2, v[1:2]
	v_add_u16_e32 v1, 0x770, v0
	v_mul_u32_u24_e32 v27, 0x717, v1
	v_lshrrev_b32_e32 v59, 19, v27
	v_mul_lo_u16_e32 v27, 0x121, v59
	v_sub_u16_e32 v60, v1, v27
	v_mad_u64_u32 v[27:28], s[12:13], s20, v60, 0
	v_add_co_u32_e32 v25, vcc, v57, v25
	global_load_dword v57, v[11:12], off
	v_mov_b32_e32 v1, v28
	global_load_dword v13, v[13:14], off
	v_mad_u64_u32 v[11:12], s[12:13], s21, v60, v[1:2]
	v_mul_lo_u32 v1, s22, v59
	v_addc_co_u32_e32 v26, vcc, v58, v26, vcc
	global_load_dword v14, v[15:16], off
	global_load_dword v58, v[17:18], off
	global_load_dword v61, v[19:20], off
	global_load_dword v62, v[21:22], off
	global_load_dword v63, v[23:24], off
	global_load_dword v64, v[25:26], off
	v_mov_b32_e32 v28, v11
	v_lshlrev_b64 v[11:12], 2, v[27:28]
	v_mov_b32_e32 v15, s7
	v_add_co_u32_e32 v11, vcc, s3, v11
	v_lshlrev_b64 v[1:2], 2, v[1:2]
	v_addc_co_u32_e32 v12, vcc, v15, v12, vcc
	v_add_co_u32_e32 v1, vcc, v11, v1
	v_addc_co_u32_e32 v2, vcc, v12, v2, vcc
	global_load_dword v1, v[1:2], off
	v_mul_lo_u16_e32 v2, 7, v0
	v_lshl_add_u32 v2, v2, 2, 0
	s_waitcnt vmcnt(16)
	ds_write_b32 v2, v30
	v_mov_b32_e32 v2, 0x341
	v_mad_legacy_u16 v2, v0, 7, v2
	v_lshl_add_u32 v2, v2, 2, 0
	s_waitcnt vmcnt(15)
	ds_write_b32 v2, v37
	v_mad_legacy_u16 v2, v4, 7, v3
	v_lshl_add_u32 v2, v2, 2, 0
	s_waitcnt vmcnt(14)
	ds_write_b32 v2, v38
	;; [unrolled: 4-line block ×16, first 2 shown]
.LBB0_6:
	s_movk_i32 s3, 0x2493
	v_mul_u32_u24_sdwa v1, v0, s3 dst_sel:DWORD dst_unused:UNUSED_PAD src0_sel:WORD_0 src1_sel:DWORD
	s_mov_b32 s3, 0x24924925
	v_mul_hi_u32 v10, v0, s3
	v_mov_b32_e32 v2, 7
	v_mul_lo_u16_sdwa v1, v1, v2 dst_sel:DWORD dst_unused:UNUSED_PAD src0_sel:WORD_1 src1_sel:DWORD
	v_sub_u16_e32 v7, v0, v1
	v_mul_u32_u24_e32 v1, 28, v10
	v_lshlrev_b32_e32 v17, 2, v7
	v_add3_u32 v8, 0, v1, v17
	s_waitcnt lgkmcnt(0)
	s_barrier
	ds_read2_b32 v[19:20], v8 offset1:119
	v_add_u32_e32 v9, 0x200, v8
	ds_read2_b32 v[21:22], v9 offset0:110 offset1:229
	v_add_u32_e32 v11, 0x600, v8
	ds_read2_b32 v[23:24], v11 offset0:92 offset1:211
	v_add_u32_e32 v12, 0xa00, v8
	ds_read2_b32 v[3:4], v12 offset0:74 offset1:193
	s_waitcnt lgkmcnt(3)
	v_add_f16_e32 v18, v20, v19
	v_add_f16_sdwa v30, v20, v19 dst_sel:DWORD dst_unused:UNUSED_PAD src0_sel:WORD_1 src1_sel:WORD_1
	v_add_u32_e32 v13, 0xe00, v8
	s_waitcnt lgkmcnt(2)
	v_add_f16_e32 v18, v18, v21
	v_add_f16_sdwa v30, v30, v21 dst_sel:DWORD dst_unused:UNUSED_PAD src0_sel:DWORD src1_sel:WORD_1
	ds_read2_b32 v[1:2], v13 offset0:56 offset1:175
	v_add_f16_e32 v18, v18, v22
	v_add_f16_sdwa v30, v30, v22 dst_sel:DWORD dst_unused:UNUSED_PAD src0_sel:DWORD src1_sel:WORD_1
	v_add_u32_e32 v14, 0x1200, v8
	s_waitcnt lgkmcnt(2)
	v_add_f16_e32 v18, v18, v23
	v_add_f16_sdwa v30, v30, v23 dst_sel:DWORD dst_unused:UNUSED_PAD src0_sel:DWORD src1_sel:WORD_1
	ds_read2_b32 v[5:6], v14 offset0:38 offset1:157
	v_add_f16_e32 v18, v18, v24
	v_add_f16_sdwa v30, v30, v24 dst_sel:DWORD dst_unused:UNUSED_PAD src0_sel:DWORD src1_sel:WORD_1
	;; [unrolled: 7-line block ×3, first 2 shown]
	s_waitcnt lgkmcnt(2)
	v_add_f16_e32 v18, v18, v1
	v_add_f16_sdwa v30, v30, v1 dst_sel:DWORD dst_unused:UNUSED_PAD src0_sel:DWORD src1_sel:WORD_1
	v_add_u32_e32 v16, 0x1800, v8
	v_add_f16_e32 v18, v18, v2
	v_add_f16_sdwa v30, v30, v2 dst_sel:DWORD dst_unused:UNUSED_PAD src0_sel:DWORD src1_sel:WORD_1
	ds_read2_b32 v[27:28], v16 offset0:130 offset1:249
	ds_read_b32 v29, v8 offset:7616
	s_waitcnt lgkmcnt(3)
	v_add_f16_e32 v18, v18, v5
	v_add_f16_sdwa v30, v30, v5 dst_sel:DWORD dst_unused:UNUSED_PAD src0_sel:DWORD src1_sel:WORD_1
	v_add_f16_e32 v18, v18, v6
	v_add_f16_sdwa v30, v30, v6 dst_sel:DWORD dst_unused:UNUSED_PAD src0_sel:DWORD src1_sel:WORD_1
	s_waitcnt lgkmcnt(2)
	v_add_f16_e32 v18, v18, v25
	v_add_f16_sdwa v30, v30, v25 dst_sel:DWORD dst_unused:UNUSED_PAD src0_sel:DWORD src1_sel:WORD_1
	v_add_f16_e32 v18, v18, v26
	v_add_f16_sdwa v30, v30, v26 dst_sel:DWORD dst_unused:UNUSED_PAD src0_sel:DWORD src1_sel:WORD_1
	;; [unrolled: 5-line block ×3, first 2 shown]
	s_waitcnt lgkmcnt(0)
	v_add_f16_e32 v18, v18, v29
	v_add_f16_sdwa v30, v30, v29 dst_sel:WORD_1 dst_unused:UNUSED_PAD src0_sel:DWORD src1_sel:WORD_1
	v_or_b32_e32 v18, v30, v18
	v_add_f16_e32 v30, v29, v20
	v_add_f16_sdwa v31, v29, v20 dst_sel:DWORD dst_unused:UNUSED_PAD src0_sel:WORD_1 src1_sel:WORD_1
	v_sub_f16_e32 v32, v20, v29
	v_sub_f16_sdwa v20, v20, v29 dst_sel:DWORD dst_unused:UNUSED_PAD src0_sel:WORD_1 src1_sel:WORD_1
	s_mov_b32 s30, 0xb5c8
	v_mul_f16_e32 v29, 0xb5c8, v20
	s_movk_i32 s7, 0x3b76
	v_mul_f16_e32 v34, 0x3b76, v31
	s_movk_i32 s31, 0x35c8
	s_mov_b32 s27, 0xb964
	v_mul_f16_e32 v36, 0xb964, v20
	s_movk_i32 s14, 0x39e9
	v_mul_f16_e32 v38, 0x39e9, v31
	s_movk_i32 s28, 0x3964
	;; [unrolled: 5-line block ×4, first 2 shown]
	s_mov_b32 s29, 0xbbb2
	v_mul_f16_e32 v48, 0xbbb2, v20
	s_mov_b32 s19, 0xb461
	v_mul_f16_e32 v50, 0xb461, v31
	s_movk_i32 s33, 0x3bb2
	s_mov_b32 s34, 0xba62
	v_mul_f16_e32 v52, 0xba62, v20
	s_mov_b32 s20, 0xb8d2
	v_mul_f16_e32 v54, 0xb8d2, v31
	s_movk_i32 s35, 0x3a62
	;; [unrolled: 5-line block ×4, first 2 shown]
	v_fma_f16 v33, v30, s7, v29
	v_fma_f16 v35, v32, s31, v34
	v_fma_f16 v29, v30, s7, -v29
	v_fma_f16 v34, v32, s30, v34
	v_fma_f16 v37, v30, s14, v36
	v_fma_f16 v39, v32, s28, v38
	v_fma_f16 v36, v30, s14, -v36
	v_fma_f16 v38, v32, s27, v38
	;; [unrolled: 4-line block ×8, first 2 shown]
	v_add_f16_e32 v33, v33, v19
	v_add_f16_sdwa v35, v35, v19 dst_sel:DWORD dst_unused:UNUSED_PAD src0_sel:DWORD src1_sel:WORD_1
	v_add_f16_e32 v29, v29, v19
	v_add_f16_sdwa v34, v34, v19 dst_sel:DWORD dst_unused:UNUSED_PAD src0_sel:DWORD src1_sel:WORD_1
	;; [unrolled: 2-line block ×16, first 2 shown]
	v_add_f16_e32 v30, v28, v21
	v_add_f16_sdwa v31, v28, v21 dst_sel:DWORD dst_unused:UNUSED_PAD src0_sel:WORD_1 src1_sel:WORD_1
	v_sub_f16_e32 v32, v21, v28
	v_sub_f16_sdwa v21, v21, v28 dst_sel:DWORD dst_unused:UNUSED_PAD src0_sel:WORD_1 src1_sel:WORD_1
	v_mul_f16_e32 v28, 0xb964, v21
	v_fma_f16 v62, v30, s14, v28
	v_add_f16_e32 v33, v62, v33
	v_mul_f16_e32 v62, 0x39e9, v31
	v_fma_f16 v28, v30, s14, -v28
	v_add_f16_e32 v28, v28, v29
	v_fma_f16 v29, v32, s27, v62
	v_add_f16_e32 v29, v29, v34
	v_mul_f16_e32 v34, 0xbbf7, v21
	v_fma_f16 v63, v32, s28, v62
	v_fma_f16 v62, v30, s18, v34
	v_add_f16_e32 v37, v62, v37
	v_mul_f16_e32 v62, 0x2de8, v31
	v_fma_f16 v34, v30, s18, -v34
	v_add_f16_e32 v34, v34, v36
	v_fma_f16 v36, v32, s12, v62
	v_add_f16_e32 v36, v36, v38
	v_mul_f16_e32 v38, 0xba62, v21
	v_add_f16_e32 v35, v63, v35
	v_fma_f16 v63, v32, s13, v62
	v_fma_f16 v62, v30, s20, v38
	v_add_f16_e32 v41, v62, v41
	v_mul_f16_e32 v62, 0xb8d2, v31
	v_fma_f16 v38, v30, s20, -v38
	v_add_f16_e32 v38, v38, v40
	v_fma_f16 v40, v32, s34, v62
	v_add_f16_e32 v40, v40, v42
	v_mul_f16_e32 v42, 0xb1e1, v21
	v_add_f16_e32 v39, v63, v39
	;; [unrolled: 10-line block ×5, first 2 shown]
	v_fma_f16 v63, v32, s29, v62
	v_fma_f16 v62, v30, s15, v54
	v_add_f16_e32 v57, v62, v57
	v_mul_f16_e32 v62, 0x3722, v31
	v_fma_f16 v54, v30, s15, -v54
	v_add_f16_e32 v54, v54, v56
	v_fma_f16 v56, v32, s26, v62
	v_mul_f16_e32 v21, 0x35c8, v21
	v_add_f16_e32 v56, v56, v58
	v_fma_f16 v58, v30, s7, v21
	v_mul_f16_e32 v31, 0x3b76, v31
	v_fma_f16 v21, v30, s7, -v21
	v_add_f16_e32 v20, v21, v20
	v_fma_f16 v21, v32, s31, v31
	v_add_f16_e32 v58, v58, v60
	v_fma_f16 v60, v32, s30, v31
	v_add_f16_e32 v19, v21, v19
	v_add_f16_e32 v21, v27, v22
	v_add_f16_sdwa v30, v27, v22 dst_sel:DWORD dst_unused:UNUSED_PAD src0_sel:WORD_1 src1_sel:WORD_1
	v_sub_f16_e32 v31, v22, v27
	v_sub_f16_sdwa v22, v22, v27 dst_sel:DWORD dst_unused:UNUSED_PAD src0_sel:WORD_1 src1_sel:WORD_1
	v_mul_f16_e32 v27, 0xbb29, v22
	v_add_f16_e32 v55, v63, v55
	v_fma_f16 v63, v32, s25, v62
	v_fma_f16 v32, v21, s15, v27
	v_add_f16_e32 v32, v32, v33
	v_mul_f16_e32 v33, 0x3722, v30
	v_fma_f16 v27, v21, s15, -v27
	v_add_f16_e32 v27, v27, v28
	v_fma_f16 v28, v31, s25, v33
	v_add_f16_e32 v28, v28, v29
	v_mul_f16_e32 v29, 0xba62, v22
	v_add_f16_e32 v60, v60, v61
	v_fma_f16 v61, v31, s26, v33
	v_fma_f16 v33, v21, s20, v29
	v_add_f16_e32 v33, v33, v37
	v_mul_f16_e32 v37, 0xb8d2, v30
	v_fma_f16 v29, v21, s20, -v29
	v_add_f16_e32 v29, v29, v34
	v_fma_f16 v34, v31, s34, v37
	v_add_f16_e32 v34, v34, v36
	;; [unrolled: 10-line block ×6, first 2 shown]
	v_mul_f16_e32 v52, 0xbbf7, v22
	v_add_f16_e32 v51, v61, v51
	v_fma_f16 v61, v31, s31, v53
	v_fma_f16 v53, v21, s18, v52
	v_add_f16_e32 v53, v53, v57
	v_mul_f16_e32 v57, 0x2de8, v30
	v_fma_f16 v52, v21, s18, -v52
	v_add_f16_e32 v52, v52, v54
	v_fma_f16 v54, v31, s12, v57
	v_mul_f16_e32 v22, 0xb836, v22
	v_add_f16_e32 v54, v54, v56
	v_fma_f16 v56, v21, s21, v22
	v_mul_f16_e32 v30, 0xbacd, v30
	v_fma_f16 v21, v21, s21, -v22
	v_add_f16_e32 v20, v21, v20
	v_fma_f16 v21, v31, s36, v30
	v_add_f16_e32 v55, v61, v55
	v_fma_f16 v61, v31, s13, v57
	v_fma_f16 v57, v31, s37, v30
	v_add_f16_e32 v19, v21, v19
	v_add_f16_e32 v21, v26, v23
	v_add_f16_sdwa v22, v26, v23 dst_sel:DWORD dst_unused:UNUSED_PAD src0_sel:WORD_1 src1_sel:WORD_1
	v_sub_f16_e32 v30, v23, v26
	v_sub_f16_sdwa v23, v23, v26 dst_sel:DWORD dst_unused:UNUSED_PAD src0_sel:WORD_1 src1_sel:WORD_1
	v_mul_f16_e32 v26, 0xbbf7, v23
	v_fma_f16 v31, v21, s18, v26
	v_add_f16_e32 v31, v31, v32
	v_mul_f16_e32 v32, 0x2de8, v22
	v_fma_f16 v26, v21, s18, -v26
	v_add_f16_e32 v26, v26, v27
	v_fma_f16 v27, v30, s12, v32
	v_add_f16_e32 v27, v27, v28
	v_mul_f16_e32 v28, 0xb1e1, v23
	v_add_f16_e32 v56, v56, v58
	v_fma_f16 v58, v30, s13, v32
	v_fma_f16 v32, v21, s22, v28
	v_add_f16_e32 v32, v32, v33
	v_mul_f16_e32 v33, 0xbbdd, v22
	v_fma_f16 v28, v21, s22, -v28
	v_add_f16_e32 v35, v58, v35
	v_fma_f16 v58, v30, s39, v33
	v_add_f16_e32 v28, v28, v29
	v_fma_f16 v29, v30, s38, v33
	v_mul_f16_e32 v33, 0x3bb2, v23
	v_add_f16_e32 v29, v29, v34
	v_fma_f16 v34, v21, s19, v33
	v_add_f16_e32 v34, v34, v37
	v_mul_f16_e32 v37, 0xb461, v22
	v_fma_f16 v33, v21, s19, -v33
	v_add_f16_e32 v39, v58, v39
	v_fma_f16 v58, v30, s29, v37
	v_add_f16_e32 v33, v33, v36
	v_fma_f16 v36, v30, s33, v37
	v_mul_f16_e32 v37, 0x35c8, v23
	v_add_f16_e32 v36, v36, v38
	;; [unrolled: 10-line block ×5, first 2 shown]
	v_fma_f16 v50, v21, s20, v49
	v_add_f16_e32 v59, v63, v59
	v_add_f16_e32 v50, v50, v53
	v_mul_f16_e32 v53, 0xb8d2, v22
	v_fma_f16 v49, v21, s20, -v49
	v_mul_f16_e32 v23, 0x3964, v23
	v_add_f16_e32 v59, v61, v59
	v_add_f16_e32 v55, v58, v55
	v_fma_f16 v58, v30, s34, v53
	v_add_f16_e32 v49, v49, v52
	v_fma_f16 v52, v30, s35, v53
	v_fma_f16 v53, v21, s14, v23
	v_mul_f16_e32 v22, 0x39e9, v22
	v_fma_f16 v21, v21, s14, -v23
	v_sub_f16_sdwa v62, v24, v25 dst_sel:DWORD dst_unused:UNUSED_PAD src0_sel:WORD_1 src1_sel:WORD_1
	v_add_f16_e32 v57, v57, v60
	v_add_f16_e32 v58, v58, v59
	;; [unrolled: 1-line block ×4, first 2 shown]
	v_fma_f16 v54, v30, s27, v22
	v_add_f16_e32 v56, v21, v20
	v_fma_f16 v20, v30, s28, v22
	v_add_f16_e32 v59, v25, v24
	v_mul_f16_e32 v21, 0xbbb2, v62
	v_add_f16_e32 v54, v54, v57
	v_add_f16_e32 v57, v20, v19
	v_add_f16_sdwa v60, v25, v24 dst_sel:DWORD dst_unused:UNUSED_PAD src0_sel:WORD_1 src1_sel:WORD_1
	v_fma_f16 v19, v59, s19, v21
	v_fma_f16 v21, v59, s19, -v21
	v_sub_f16_e32 v61, v24, v25
	v_add_f16_e32 v21, v21, v26
	v_mul_f16_e32 v26, 0xbacd, v60
	v_mul_f16_e32 v22, 0xb461, v60
	v_fma_f16 v24, v61, s36, v26
	v_fma_f16 v26, v61, s37, v26
	;; [unrolled: 1-line block ×4, first 2 shown]
	v_add_f16_e32 v26, v26, v29
	v_mul_f16_e32 v29, 0x3964, v62
	v_add_f16_e32 v22, v22, v27
	v_fma_f16 v27, v59, s14, v29
	v_fma_f16 v29, v59, s14, -v29
	v_add_f16_e32 v29, v29, v33
	v_mul_f16_e32 v33, 0xbb29, v62
	v_add_f16_e32 v19, v19, v31
	v_fma_f16 v31, v59, s15, v33
	v_fma_f16 v33, v59, s15, -v33
	;; [unrolled: 5-line block ×3, first 2 shown]
	v_mul_f16_e32 v25, 0x3836, v62
	v_add_f16_e32 v37, v37, v41
	v_mul_f16_e32 v41, 0x3bf7, v62
	v_fma_f16 v23, v59, s21, v25
	v_add_f16_e32 v24, v24, v39
	v_fma_f16 v25, v59, s21, -v25
	v_mul_f16_e32 v30, 0x39e9, v60
	v_fma_f16 v39, v59, s18, v41
	v_fma_f16 v41, v59, s18, -v41
	v_add_f16_e32 v25, v25, v28
	v_fma_f16 v28, v61, s27, v30
	v_add_f16_e32 v41, v41, v45
	v_mul_f16_e32 v45, 0xb5c8, v62
	v_add_f16_e32 v27, v27, v34
	v_add_f16_e32 v28, v28, v43
	v_fma_f16 v30, v61, s28, v30
	v_add_f16_e32 v31, v31, v38
	v_mul_f16_e32 v34, 0x3722, v60
	v_mul_f16_e32 v38, 0xbbdd, v60
	v_fma_f16 v43, v59, s7, v45
	v_fma_f16 v45, v59, s7, -v45
	v_add_f16_e32 v23, v23, v32
	v_add_f16_e32 v30, v30, v36
	v_fma_f16 v32, v61, s26, v34
	v_fma_f16 v36, v61, s39, v38
	;; [unrolled: 1-line block ×3, first 2 shown]
	v_add_f16_e32 v39, v39, v46
	v_mul_f16_e32 v46, 0x3b76, v60
	v_add_f16_e32 v45, v45, v49
	v_mul_f16_e32 v49, 0xba62, v62
	v_add_f16_e32 v32, v32, v47
	v_fma_f16 v34, v61, s25, v34
	v_add_f16_e32 v35, v35, v42
	v_add_f16_e32 v38, v38, v44
	v_mul_f16_e32 v42, 0x2de8, v60
	v_fma_f16 v44, v61, s31, v46
	v_fma_f16 v46, v61, s30, v46
	v_fma_f16 v47, v59, s20, v49
	v_add_f16_e32 v34, v34, v40
	v_add_f16_e32 v36, v36, v51
	v_fma_f16 v40, v61, s12, v42
	v_fma_f16 v42, v61, s13, v42
	v_add_f16_e32 v43, v43, v50
	v_add_f16_e32 v46, v46, v52
	;; [unrolled: 1-line block ×3, first 2 shown]
	v_mul_f16_e32 v50, 0xb8d2, v60
	v_add_f16_e32 v51, v6, v3
	v_add_f16_sdwa v52, v6, v3 dst_sel:DWORD dst_unused:UNUSED_PAD src0_sel:WORD_1 src1_sel:WORD_1
	v_sub_f16_e32 v53, v3, v6
	v_sub_f16_sdwa v3, v3, v6 dst_sel:DWORD dst_unused:UNUSED_PAD src0_sel:WORD_1 src1_sel:WORD_1
	v_add_f16_e32 v42, v42, v48
	v_fma_f16 v48, v61, s35, v50
	v_mul_f16_e32 v6, 0xba62, v3
	v_add_f16_e32 v48, v48, v54
	v_fma_f16 v54, v51, s20, v6
	v_add_f16_e32 v19, v54, v19
	v_mul_f16_e32 v54, 0xb8d2, v52
	v_fma_f16 v6, v51, s20, -v6
	v_add_f16_e32 v6, v6, v21
	v_fma_f16 v21, v53, s34, v54
	v_add_f16_e32 v21, v21, v22
	v_mul_f16_e32 v22, 0x3bb2, v3
	v_add_f16_e32 v40, v40, v55
	v_fma_f16 v55, v53, s35, v54
	v_fma_f16 v54, v51, s19, v22
	v_add_f16_e32 v23, v54, v23
	v_mul_f16_e32 v54, 0xb461, v52
	v_fma_f16 v22, v51, s19, -v22
	v_add_f16_e32 v22, v22, v25
	v_fma_f16 v25, v53, s33, v54
	v_add_f16_e32 v25, v25, v26
	v_mul_f16_e32 v26, 0xb5c8, v3
	v_add_f16_e32 v20, v55, v20
	v_fma_f16 v55, v53, s29, v54
	v_fma_f16 v54, v51, s7, v26
	v_add_f16_e32 v27, v54, v27
	v_mul_f16_e32 v54, 0x3b76, v52
	v_fma_f16 v26, v51, s7, -v26
	v_add_f16_e32 v26, v26, v29
	v_fma_f16 v29, v53, s30, v54
	v_add_f16_e32 v29, v29, v30
	v_mul_f16_e32 v30, 0xb836, v3
	v_add_f16_e32 v24, v55, v24
	v_fma_f16 v55, v53, s31, v54
	v_fma_f16 v54, v51, s21, v30
	v_add_f16_e32 v31, v54, v31
	v_mul_f16_e32 v54, 0xbacd, v52
	v_fma_f16 v30, v51, s21, -v30
	v_add_f16_e32 v30, v30, v33
	v_fma_f16 v33, v53, s36, v54
	v_add_f16_e32 v33, v33, v34
	v_mul_f16_e32 v34, 0x3bf7, v3
	v_add_f16_e32 v28, v55, v28
	v_fma_f16 v55, v53, s37, v54
	v_fma_f16 v54, v51, s18, v34
	v_add_f16_e32 v35, v54, v35
	v_mul_f16_e32 v54, 0x2de8, v52
	v_fma_f16 v34, v51, s18, -v34
	v_add_f16_e32 v34, v34, v37
	v_fma_f16 v37, v53, s13, v54
	v_add_f16_e32 v37, v37, v38
	v_mul_f16_e32 v38, 0xb964, v3
	v_add_f16_e32 v32, v55, v32
	v_fma_f16 v55, v53, s12, v54
	v_fma_f16 v54, v51, s14, v38
	v_add_f16_e32 v39, v54, v39
	v_mul_f16_e32 v54, 0x39e9, v52
	v_fma_f16 v38, v51, s14, -v38
	v_add_f16_e32 v38, v38, v41
	v_fma_f16 v41, v53, s27, v54
	v_add_f16_e32 v41, v41, v42
	v_mul_f16_e32 v42, 0xb1e1, v3
	v_add_f16_e32 v36, v55, v36
	v_fma_f16 v55, v53, s28, v54
	v_fma_f16 v54, v51, s22, v42
	v_add_f16_e32 v43, v54, v43
	v_mul_f16_e32 v54, 0xbbdd, v52
	v_fma_f16 v42, v51, s22, -v42
	v_add_f16_e32 v42, v42, v45
	v_fma_f16 v45, v53, s38, v54
	v_mul_f16_e32 v3, 0x3b29, v3
	v_add_f16_e32 v45, v45, v46
	v_fma_f16 v46, v51, s15, v3
	v_fma_f16 v49, v59, s20, -v49
	v_fma_f16 v50, v61, s34, v50
	v_add_f16_e32 v46, v46, v47
	v_mul_f16_e32 v47, 0x3722, v52
	v_add_f16_e32 v49, v49, v56
	v_add_f16_e32 v50, v50, v57
	v_fma_f16 v52, v53, s25, v47
	v_fma_f16 v3, v51, s15, -v3
	v_fma_f16 v47, v53, s26, v47
	v_add_f16_e32 v3, v3, v49
	v_add_f16_e32 v47, v47, v50
	;; [unrolled: 1-line block ×3, first 2 shown]
	v_add_f16_sdwa v50, v5, v4 dst_sel:DWORD dst_unused:UNUSED_PAD src0_sel:WORD_1 src1_sel:WORD_1
	v_sub_f16_e32 v51, v4, v5
	v_sub_f16_sdwa v4, v4, v5 dst_sel:DWORD dst_unused:UNUSED_PAD src0_sel:WORD_1 src1_sel:WORD_1
	v_mul_f16_e32 v5, 0xb836, v4
	v_add_f16_e32 v48, v52, v48
	v_fma_f16 v52, v49, s21, v5
	v_add_f16_e32 v19, v52, v19
	v_mul_f16_e32 v52, 0xbacd, v50
	v_fma_f16 v5, v49, s21, -v5
	v_add_f16_e32 v5, v5, v6
	v_fma_f16 v6, v51, s36, v52
	v_add_f16_e32 v6, v6, v21
	v_mul_f16_e32 v21, 0x3b29, v4
	v_add_f16_e32 v40, v55, v40
	v_fma_f16 v55, v53, s39, v54
	v_fma_f16 v53, v51, s37, v52
	;; [unrolled: 1-line block ×3, first 2 shown]
	v_add_f16_e32 v23, v52, v23
	v_mul_f16_e32 v52, 0x3722, v50
	v_fma_f16 v21, v49, s15, -v21
	v_add_f16_e32 v21, v21, v22
	v_fma_f16 v22, v51, s26, v52
	v_add_f16_e32 v22, v22, v25
	v_mul_f16_e32 v25, 0xbbf7, v4
	v_add_f16_e32 v20, v53, v20
	v_fma_f16 v53, v51, s25, v52
	v_fma_f16 v52, v49, s18, v25
	v_add_f16_e32 v27, v52, v27
	v_mul_f16_e32 v52, 0x2de8, v50
	v_fma_f16 v25, v49, s18, -v25
	v_add_f16_e32 v25, v25, v26
	v_fma_f16 v26, v51, s12, v52
	v_add_f16_e32 v26, v26, v29
	v_mul_f16_e32 v29, 0x3a62, v4
	v_add_f16_e32 v24, v53, v24
	v_fma_f16 v53, v51, s13, v52
	v_fma_f16 v52, v49, s20, v29
	;; [unrolled: 10-line block ×5, first 2 shown]
	v_add_f16_e32 v43, v52, v43
	v_mul_f16_e32 v52, 0x39e9, v50
	v_fma_f16 v41, v49, s14, -v41
	v_add_f16_e32 v41, v41, v42
	v_fma_f16 v42, v51, s28, v52
	v_mul_f16_e32 v4, 0xbbb2, v4
	v_add_f16_e32 v42, v42, v45
	v_fma_f16 v45, v49, s19, v4
	v_add_f16_e32 v45, v45, v46
	v_mul_f16_e32 v46, 0xb461, v50
	v_fma_f16 v4, v49, s19, -v4
	v_add_f16_e32 v40, v53, v40
	v_fma_f16 v53, v51, s27, v52
	v_fma_f16 v50, v51, s33, v46
	v_add_f16_e32 v49, v4, v3
	v_fma_f16 v3, v51, s29, v46
	v_sub_f16_sdwa v52, v1, v2 dst_sel:DWORD dst_unused:UNUSED_PAD src0_sel:WORD_1 src1_sel:WORD_1
	v_add_f16_e32 v44, v44, v58
	v_add_f16_e32 v48, v50, v48
	;; [unrolled: 1-line block ×4, first 2 shown]
	v_add_f16_sdwa v50, v2, v1 dst_sel:DWORD dst_unused:UNUSED_PAD src0_sel:WORD_1 src1_sel:WORD_1
	v_sub_f16_e32 v51, v1, v2
	v_mul_f16_e32 v1, 0xb1e1, v52
	v_add_f16_e32 v44, v55, v44
	v_fma_f16 v2, v47, s22, v1
	v_add_f16_e32 v44, v53, v44
	v_add_f16_e32 v53, v2, v19
	v_mul_f16_e32 v2, 0xbbdd, v50
	v_fma_f16 v3, v51, s39, v2
	v_add_f16_e32 v54, v3, v20
	v_mul_f16_e32 v3, 0x35c8, v52
	v_fma_f16 v4, v47, s7, v3
	v_fma_f16 v1, v47, s22, -v1
	v_add_f16_e32 v55, v4, v23
	v_mul_f16_e32 v4, 0x3b76, v50
	v_add_f16_e32 v1, v1, v5
	v_fma_f16 v5, v51, s30, v4
	v_fma_f16 v2, v51, s38, v2
	v_add_f16_e32 v56, v5, v24
	v_mul_f16_e32 v5, 0xb836, v52
	v_add_f16_e32 v2, v2, v6
	v_fma_f16 v6, v47, s21, v5
	v_add_f16_e32 v57, v6, v27
	v_mul_f16_e32 v6, 0xbacd, v50
	v_fma_f16 v19, v51, s37, v6
	v_add_f16_e32 v58, v19, v28
	v_mul_f16_e32 v19, 0x3964, v52
	v_fma_f16 v20, v47, s14, v19
	v_fma_f16 v3, v47, s7, -v3
	v_add_f16_e32 v31, v20, v31
	v_mul_f16_e32 v20, 0x39e9, v50
	v_add_f16_e32 v3, v3, v21
	v_fma_f16 v21, v51, s27, v20
	v_fma_f16 v4, v51, s31, v4
	v_add_f16_e32 v32, v21, v32
	v_mul_f16_e32 v21, 0xba62, v52
	v_add_f16_e32 v4, v4, v22
	v_fma_f16 v22, v47, s20, v21
	v_add_f16_e32 v35, v22, v35
	v_mul_f16_e32 v22, 0xb8d2, v50
	v_fma_f16 v23, v51, s35, v22
	v_add_f16_e32 v36, v23, v36
	v_mul_f16_e32 v23, 0x3b29, v52
	v_fma_f16 v21, v47, s20, -v21
	v_fma_f16 v24, v47, s15, v23
	v_fma_f16 v5, v47, s21, -v5
	v_add_f16_e32 v21, v21, v33
	v_add_f16_e32 v33, v24, v39
	v_mul_f16_e32 v24, 0x3722, v50
	v_add_f16_e32 v5, v5, v25
	v_fma_f16 v22, v51, s34, v22
	v_fma_f16 v25, v51, s25, v24
	;; [unrolled: 1-line block ×3, first 2 shown]
	v_add_f16_e32 v22, v22, v34
	v_add_f16_e32 v34, v25, v40
	v_mul_f16_e32 v25, 0xbbb2, v52
	v_add_f16_e32 v6, v6, v26
	v_fma_f16 v23, v47, s15, -v23
	v_fma_f16 v26, v47, s19, v25
	v_mul_u32_u24_e32 v39, 0x1dc, v10
	v_fma_f16 v19, v47, s14, -v19
	v_fma_f16 v20, v51, s28, v20
	v_add_f16_e32 v23, v23, v37
	v_add_f16_e32 v37, v26, v43
	v_mul_f16_e32 v26, 0xb461, v50
	v_add3_u32 v17, 0, v39, v17
	v_pack_b32_f16 v39, v53, v54
	v_add_f16_e32 v19, v19, v29
	v_add_f16_e32 v20, v20, v30
	v_fma_f16 v24, v51, s26, v24
	v_fma_f16 v27, v51, s33, v26
	v_mul_f16_e32 v29, 0x3bf7, v52
	v_mul_f16_e32 v30, 0x2de8, v50
	s_barrier
	ds_write2_b32 v17, v18, v39 offset1:7
	v_pack_b32_f16 v18, v55, v56
	v_pack_b32_f16 v39, v57, v58
	v_add_f16_e32 v24, v24, v38
	v_add_f16_e32 v38, v27, v44
	v_fma_f16 v27, v47, s18, v29
	v_fma_f16 v28, v51, s12, v30
	v_fma_f16 v29, v47, s18, -v29
	v_fma_f16 v30, v51, s13, v30
	ds_write2_b32 v17, v18, v39 offset0:14 offset1:21
	v_pack_b32_f16 v18, v31, v32
	v_pack_b32_f16 v31, v35, v36
	v_fma_f16 v25, v47, s19, -v25
	v_fma_f16 v26, v51, s29, v26
	v_add_f16_e32 v27, v27, v45
	v_add_f16_e32 v28, v28, v48
	;; [unrolled: 1-line block ×4, first 2 shown]
	ds_write2_b32 v17, v18, v31 offset0:28 offset1:35
	v_pack_b32_f16 v18, v33, v34
	v_pack_b32_f16 v31, v37, v38
	;; [unrolled: 1-line block ×3, first 2 shown]
	v_add_f16_e32 v25, v25, v41
	v_add_f16_e32 v26, v26, v42
	ds_write2_b32 v17, v18, v31 offset0:42 offset1:49
	v_pack_b32_f16 v18, v27, v28
	v_pack_b32_f16 v27, v29, v30
	ds_write_b32 v17, v1 offset:448
	v_add_u32_e32 v1, s24, v7
	ds_write2_b32 v17, v18, v27 offset0:56 offset1:63
	v_pack_b32_f16 v18, v25, v26
	v_pack_b32_f16 v23, v23, v24
	v_cmp_gt_u32_e32 vcc, s16, v1
	s_mov_b32 s3, 0
	ds_write2_b32 v17, v18, v23 offset0:70 offset1:77
	v_pack_b32_f16 v18, v21, v22
	v_pack_b32_f16 v19, v19, v20
	;; [unrolled: 1-line block ×4, first 2 shown]
	s_or_b64 s[10:11], s[10:11], vcc
	ds_write2_b32 v17, v18, v19 offset0:84 offset1:91
	ds_write2_b32 v17, v5, v3 offset0:98 offset1:105
	s_waitcnt lgkmcnt(0)
	s_barrier
	s_and_saveexec_b64 s[12:13], s[10:11]
	s_cbranch_execz .LBB0_8
; %bb.7:
	s_mov_b32 s10, 0xf0f0f10
	v_mul_hi_u32 v1, v10, s10
	s_load_dwordx2 s[10:11], s[4:5], 0x0
	s_load_dwordx2 s[12:13], s[4:5], 0x60
	s_mul_i32 s4, s1, s24
	s_mul_hi_u32 s5, s0, s24
	v_mul_u32_u24_e32 v1, 17, v1
	v_sub_u32_e32 v3, v10, v1
	v_lshlrev_b32_e32 v1, 6, v3
	s_waitcnt lgkmcnt(0)
	global_load_dwordx4 v[23:26], v1, s[10:11] offset:16
	global_load_dwordx4 v[27:30], v1, s[10:11] offset:32
	global_load_dwordx4 v[34:37], v1, s[10:11]
	global_load_dwordx4 v[45:48], v1, s[10:11] offset:48
	ds_read2_b32 v[1:2], v13 offset0:56 offset1:175
	ds_read2_b32 v[12:13], v12 offset0:74 offset1:193
	;; [unrolled: 1-line block ×7, first 2 shown]
	s_waitcnt lgkmcnt(6)
	v_lshrrev_b32_e32 v4, 16, v1
	s_waitcnt lgkmcnt(5)
	v_lshrrev_b32_e32 v11, 16, v13
	;; [unrolled: 2-line block ×5, first 2 shown]
	v_lshrrev_b32_e32 v9, 16, v2
	v_lshrrev_b32_e32 v19, 16, v12
	;; [unrolled: 1-line block ×4, first 2 shown]
	s_waitcnt lgkmcnt(0)
	v_lshrrev_b32_e32 v56, 16, v52
	v_lshrrev_b32_e32 v33, 16, v22
	;; [unrolled: 1-line block ×3, first 2 shown]
	s_add_i32 s5, s5, s4
	s_mul_i32 s4, s0, s24
	s_mul_i32 s2, s23, s2
	s_waitcnt vmcnt(3)
	v_mul_f16_sdwa v5, v4, v26 dst_sel:DWORD dst_unused:UNUSED_PAD src0_sel:DWORD src1_sel:WORD_1
	v_mul_f16_sdwa v10, v1, v26 dst_sel:DWORD dst_unused:UNUSED_PAD src0_sel:DWORD src1_sel:WORD_1
	s_waitcnt vmcnt(2)
	v_mul_f16_sdwa v18, v2, v27 dst_sel:DWORD dst_unused:UNUSED_PAD src0_sel:DWORD src1_sel:WORD_1
	v_mul_f16_sdwa v20, v11, v25 dst_sel:DWORD dst_unused:UNUSED_PAD src0_sel:DWORD src1_sel:WORD_1
	;; [unrolled: 1-line block ×6, first 2 shown]
	s_waitcnt vmcnt(1)
	v_mul_f16_sdwa v67, v49, v36 dst_sel:DWORD dst_unused:UNUSED_PAD src0_sel:DWORD src1_sel:WORD_1
	v_fma_f16 v5, v1, v26, v5
	v_mul_f16_sdwa v1, v36, v39 dst_sel:DWORD dst_unused:UNUSED_PAD src0_sel:WORD_1 src1_sel:DWORD
	v_mul_f16_sdwa v6, v9, v27 dst_sel:DWORD dst_unused:UNUSED_PAD src0_sel:DWORD src1_sel:WORD_1
	v_fma_f16 v17, v4, v26, -v10
	v_fma_f16 v18, v9, v27, -v18
	v_fma_f16 v10, v13, v25, v20
	v_fma_f16 v9, v21, v28, v44
	v_fma_f16 v20, v16, v28, -v51
	v_fma_f16 v16, v32, v23, v59
	v_fma_f16 v28, v40, v23, -v61
	;; [unrolled: 2-line block ×3, first 2 shown]
	s_waitcnt vmcnt(0)
	v_mul_f16_sdwa v1, v52, v46 dst_sel:DWORD dst_unused:UNUSED_PAD src0_sel:DWORD src1_sel:WORD_1
	v_mul_f16_sdwa v50, v13, v25 dst_sel:DWORD dst_unused:UNUSED_PAD src0_sel:DWORD src1_sel:WORD_1
	;; [unrolled: 1-line block ×8, first 2 shown]
	v_fma_f16 v32, v56, v46, -v1
	v_lshrrev_b32_e32 v1, 16, v38
	v_mul_f16_sdwa v55, v33, v29 dst_sel:DWORD dst_unused:UNUSED_PAD src0_sel:DWORD src1_sel:WORD_1
	v_mul_f16_sdwa v58, v22, v29 dst_sel:DWORD dst_unused:UNUSED_PAD src0_sel:DWORD src1_sel:WORD_1
	v_fma_f16 v6, v2, v27, v6
	v_fma_f16 v21, v11, v25, -v50
	v_fma_f16 v13, v12, v24, v54
	v_fma_f16 v25, v19, v24, -v57
	;; [unrolled: 2-line block ×4, first 2 shown]
	v_mul_f16_sdwa v2, v35, v1 dst_sel:DWORD dst_unused:UNUSED_PAD src0_sel:WORD_1 src1_sel:DWORD
	v_lshrrev_b32_e32 v37, 16, v53
	v_fma_f16 v11, v22, v29, v55
	v_fma_f16 v22, v33, v29, -v58
	v_fma_f16 v33, v35, v38, v2
	v_mul_f16_sdwa v2, v37, v47 dst_sel:DWORD dst_unused:UNUSED_PAD src0_sel:DWORD src1_sel:WORD_1
	v_fma_f16 v31, v53, v47, v2
	v_mul_f16_sdwa v2, v35, v38 dst_sel:DWORD dst_unused:UNUSED_PAD src0_sel:WORD_1 src1_sel:DWORD
	v_fma_f16 v39, v35, v1, -v2
	ds_read2_b32 v[1:2], v8 offset1:119
	ds_read_b32 v8, v8 offset:7616
	v_mul_f16_sdwa v68, v56, v46 dst_sel:DWORD dst_unused:UNUSED_PAD src0_sel:DWORD src1_sel:WORD_1
	v_fma_f16 v14, v52, v46, v68
	v_mul_f16_sdwa v35, v53, v47 dst_sel:DWORD dst_unused:UNUSED_PAD src0_sel:DWORD src1_sel:WORD_1
	s_waitcnt lgkmcnt(1)
	v_lshrrev_b32_e32 v40, 16, v2
	v_mul_f16_sdwa v38, v34, v40 dst_sel:DWORD dst_unused:UNUSED_PAD src0_sel:WORD_1 src1_sel:DWORD
	v_fma_f16 v38, v34, v2, v38
	v_mul_f16_sdwa v2, v34, v2 dst_sel:DWORD dst_unused:UNUSED_PAD src0_sel:WORD_1 src1_sel:DWORD
	v_fma_f16 v46, v34, v40, -v2
	s_waitcnt lgkmcnt(0)
	v_lshrrev_b32_e32 v2, 16, v8
	v_mul_f16_sdwa v34, v2, v48 dst_sel:DWORD dst_unused:UNUSED_PAD src0_sel:DWORD src1_sel:WORD_1
	v_fma_f16 v34, v8, v48, v34
	v_mul_f16_sdwa v8, v8, v48 dst_sel:DWORD dst_unused:UNUSED_PAD src0_sel:DWORD src1_sel:WORD_1
	v_sub_f16_e32 v74, v38, v34
	v_fma_f16 v40, v2, v48, -v8
	v_mul_f16_sdwa v64, v43, v45 dst_sel:DWORD dst_unused:UNUSED_PAD src0_sel:DWORD src1_sel:WORD_1
	v_sub_f16_e32 v67, v33, v31
	v_fma_f16 v37, v37, v47, -v35
	v_mul_f16_e32 v47, 0xb1e1, v74
	v_add_f16_e32 v60, v46, v40
	v_mul_f16_sdwa v66, v15, v45 dst_sel:DWORD dst_unused:UNUSED_PAD src0_sel:DWORD src1_sel:WORD_1
	v_fma_f16 v15, v15, v45, v64
	v_sub_f16_e32 v63, v23, v14
	v_mul_f16_e32 v82, 0x35c8, v67
	v_add_f16_e32 v52, v39, v37
	v_fma_f16 v2, v60, s22, v47
	v_fma_f16 v26, v43, v45, -v66
	v_sub_f16_e32 v58, v19, v15
	v_mul_f16_e32 v81, 0xb836, v63
	v_add_f16_e32 v49, v36, v32
	v_fma_f16 v35, v52, s7, v82
	v_add_f16_sdwa v2, v2, v1 dst_sel:DWORD dst_unused:UNUSED_PAD src0_sel:DWORD src1_sel:WORD_1
	v_sub_f16_e32 v55, v16, v12
	v_add_f16_e32 v45, v30, v26
	v_mul_f16_e32 v80, 0x3964, v58
	v_fma_f16 v56, v49, s21, v81
	v_add_f16_e32 v2, v35, v2
	v_sub_f16_e32 v54, v13, v11
	v_add_f16_e32 v44, v28, v24
	v_mul_f16_e32 v79, 0xba62, v55
	v_fma_f16 v62, v45, s14, v80
	v_add_f16_e32 v2, v56, v2
	;; [unrolled: 5-line block ×6, first 2 shown]
	v_sub_f16_e32 v69, v36, v32
	v_add_f16_e32 v59, v33, v31
	v_mul_f16_e32 v48, 0x35c8, v71
	v_fma_f16 v8, v61, s22, -v53
	v_add_f16_e32 v2, v4, v2
	v_add_f16_e32 v57, v23, v14
	v_mul_f16_e32 v35, 0xb836, v69
	v_fma_f16 v4, v59, s7, -v48
	v_add_f16_e32 v8, v8, v1
	v_sub_f16_e32 v72, v30, v26
	v_add_f16_e32 v4, v4, v8
	v_fma_f16 v8, v57, s21, -v35
	v_add_f16_e32 v62, v19, v15
	v_mul_f16_e32 v56, 0x3964, v72
	v_sub_f16_e32 v75, v28, v24
	v_add_f16_e32 v4, v8, v4
	v_fma_f16 v8, v62, s14, -v56
	v_add_f16_e32 v64, v16, v12
	v_mul_f16_e32 v83, 0xba62, v75
	v_sub_f16_e32 v76, v25, v22
	v_add_f16_e32 v4, v8, v4
	v_fma_f16 v8, v64, s20, -v83
	v_add_f16_e32 v65, v13, v11
	v_mul_f16_e32 v84, 0x3b29, v76
	v_sub_f16_e32 v77, v21, v20
	v_add_f16_e32 v4, v8, v4
	v_fma_f16 v8, v65, s15, -v84
	v_add_f16_e32 v66, v10, v9
	v_mul_f16_e32 v85, 0xbbb2, v77
	v_sub_f16_e32 v78, v17, v18
	v_add_f16_e32 v4, v8, v4
	v_fma_f16 v8, v66, s19, -v85
	v_add_f16_e32 v68, v5, v6
	v_mul_f16_e32 v86, 0x3bf7, v78
	v_add_f16_e32 v4, v8, v4
	v_fma_f16 v8, v68, s18, -v86
	v_fma_f16 v47, v60, s22, -v47
	v_add_f16_e32 v4, v8, v4
	v_fma_f16 v8, v52, s7, -v82
	v_add_f16_sdwa v47, v47, v1 dst_sel:DWORD dst_unused:UNUSED_PAD src0_sel:DWORD src1_sel:WORD_1
	v_add_f16_e32 v8, v8, v47
	v_fma_f16 v47, v49, s21, -v81
	v_add_f16_e32 v8, v47, v8
	v_fma_f16 v47, v45, s14, -v80
	;; [unrolled: 2-line block ×6, first 2 shown]
	v_fma_f16 v29, v61, s22, v53
	v_add_f16_e32 v8, v27, v8
	v_fma_f16 v27, v59, s7, v48
	v_add_f16_e32 v29, v29, v1
	v_add_f16_e32 v27, v27, v29
	v_fma_f16 v29, v57, s21, v35
	v_add_f16_e32 v27, v29, v27
	v_fma_f16 v29, v62, s14, v56
	;; [unrolled: 2-line block ×6, first 2 shown]
	v_mul_f16_e32 v47, 0xb836, v74
	v_add_f16_e32 v27, v29, v27
	v_fma_f16 v29, v60, s21, v47
	v_mul_f16_e32 v48, 0x3b29, v67
	v_add_f16_sdwa v29, v29, v1 dst_sel:DWORD dst_unused:UNUSED_PAD src0_sel:DWORD src1_sel:WORD_1
	v_fma_f16 v35, v52, s15, v48
	v_mul_f16_e32 v53, 0xbbf7, v63
	v_add_f16_e32 v29, v35, v29
	v_fma_f16 v35, v49, s18, v53
	v_mul_f16_e32 v56, 0x3a62, v58
	v_add_f16_e32 v29, v35, v29
	v_fma_f16 v35, v45, s20, v56
	v_mul_f16_e32 v70, 0xb5c8, v55
	v_add_f16_e32 v29, v35, v29
	v_fma_f16 v35, v44, s7, v70
	v_mul_f16_e32 v79, 0xb1e1, v54
	v_add_f16_e32 v29, v35, v29
	v_fma_f16 v35, v43, s22, v79
	v_mul_f16_e32 v80, 0x3964, v51
	v_add_f16_e32 v29, v35, v29
	v_fma_f16 v35, v42, s14, v80
	v_mul_f16_e32 v81, 0xbbb2, v50
	v_add_f16_e32 v29, v35, v29
	v_fma_f16 v35, v41, s19, v81
	v_mul_f16_e32 v82, 0xb836, v73
	v_fma_f16 v47, v60, s21, -v47
	v_add_f16_e32 v29, v35, v29
	v_fma_f16 v35, v61, s21, -v82
	v_mul_f16_e32 v83, 0x3b29, v71
	v_fma_f16 v48, v52, s15, -v48
	v_add_f16_sdwa v47, v47, v1 dst_sel:DWORD dst_unused:UNUSED_PAD src0_sel:DWORD src1_sel:WORD_1
	v_add_f16_e32 v35, v35, v1
	v_fma_f16 v84, v59, s15, -v83
	v_add_f16_e32 v47, v48, v47
	v_fma_f16 v48, v49, s18, -v53
	v_add_f16_e32 v35, v84, v35
	v_mul_f16_e32 v84, 0xbbf7, v69
	v_add_f16_e32 v47, v48, v47
	v_fma_f16 v48, v45, s20, -v56
	v_fma_f16 v85, v57, s18, -v84
	v_add_f16_e32 v47, v48, v47
	v_fma_f16 v48, v44, s7, -v70
	v_add_f16_e32 v35, v85, v35
	v_mul_f16_e32 v85, 0x3a62, v72
	v_add_f16_e32 v47, v48, v47
	v_fma_f16 v48, v43, s22, -v79
	;; [unrolled: 7-line block ×3, first 2 shown]
	v_fma_f16 v53, v61, s21, v82
	v_fma_f16 v87, v64, s7, -v86
	v_add_f16_e32 v47, v48, v47
	v_fma_f16 v48, v59, s15, v83
	v_add_f16_e32 v53, v53, v1
	v_add_f16_e32 v35, v87, v35
	v_mul_f16_e32 v87, 0xb1e1, v76
	v_add_f16_e32 v48, v48, v53
	v_fma_f16 v53, v57, s18, v84
	v_fma_f16 v88, v65, s22, -v87
	v_add_f16_e32 v48, v53, v48
	v_fma_f16 v53, v62, s20, v85
	v_add_f16_e32 v35, v88, v35
	v_mul_f16_e32 v88, 0x3964, v77
	v_add_f16_e32 v48, v53, v48
	v_fma_f16 v53, v64, s7, v86
	v_fma_f16 v89, v66, s14, -v88
	v_add_f16_e32 v48, v53, v48
	v_fma_f16 v53, v65, s22, v87
	v_add_f16_e32 v35, v89, v35
	v_mul_f16_e32 v89, 0xbbb2, v78
	v_add_f16_e32 v48, v53, v48
	v_fma_f16 v53, v66, s14, v88
	v_add_f16_e32 v48, v53, v48
	v_fma_f16 v53, v68, s19, v89
	v_mul_f16_e32 v70, 0xba62, v74
	v_add_f16_e32 v53, v53, v48
	v_fma_f16 v48, v60, s20, v70
	v_mul_f16_e32 v79, 0x3bb2, v67
	v_add_f16_sdwa v48, v48, v1 dst_sel:DWORD dst_unused:UNUSED_PAD src0_sel:DWORD src1_sel:WORD_1
	v_fma_f16 v56, v52, s19, v79
	v_mul_f16_e32 v80, 0xb5c8, v63
	v_add_f16_e32 v48, v56, v48
	v_fma_f16 v56, v49, s7, v80
	v_mul_f16_e32 v81, 0xb836, v58
	v_add_f16_e32 v48, v56, v48
	;; [unrolled: 3-line block ×6, first 2 shown]
	v_fma_f16 v56, v41, s15, v85
	v_mul_f16_e32 v86, 0xba62, v73
	v_fma_f16 v70, v60, s20, -v70
	v_add_f16_e32 v48, v56, v48
	v_fma_f16 v56, v61, s20, -v86
	v_mul_f16_e32 v87, 0x3bb2, v71
	v_fma_f16 v79, v52, s19, -v79
	v_add_f16_sdwa v70, v70, v1 dst_sel:DWORD dst_unused:UNUSED_PAD src0_sel:DWORD src1_sel:WORD_1
	v_add_f16_e32 v56, v56, v1
	v_fma_f16 v88, v59, s19, -v87
	v_add_f16_e32 v70, v79, v70
	v_fma_f16 v79, v49, s7, -v80
	v_add_f16_e32 v56, v88, v56
	v_mul_f16_e32 v88, 0xb5c8, v69
	v_add_f16_e32 v70, v79, v70
	v_fma_f16 v79, v45, s21, -v81
	v_fma_f16 v90, v68, s19, -v89
	v_fma_f16 v89, v57, s7, -v88
	v_add_f16_e32 v70, v79, v70
	v_fma_f16 v79, v44, s18, -v82
	v_add_f16_e32 v56, v89, v56
	v_mul_f16_e32 v89, 0xb836, v72
	v_add_f16_e32 v70, v79, v70
	v_fma_f16 v79, v43, s14, -v83
	v_add_f16_e32 v35, v90, v35
	v_fma_f16 v90, v62, s21, -v89
	;; [unrolled: 2-line block ×3, first 2 shown]
	v_add_f16_e32 v56, v90, v56
	v_mul_f16_e32 v90, 0x3bf7, v75
	v_add_f16_e32 v70, v79, v70
	v_fma_f16 v79, v41, s15, -v85
	v_fma_f16 v80, v61, s20, v86
	v_fma_f16 v91, v64, s18, -v90
	v_add_f16_e32 v79, v79, v70
	v_fma_f16 v70, v59, s19, v87
	v_add_f16_e32 v80, v80, v1
	v_add_f16_e32 v56, v91, v56
	v_mul_f16_e32 v91, 0xb964, v76
	v_add_f16_e32 v70, v70, v80
	v_fma_f16 v80, v57, s7, v88
	v_fma_f16 v92, v65, s14, -v91
	v_add_f16_e32 v70, v80, v70
	v_fma_f16 v80, v62, s21, v89
	v_add_f16_e32 v56, v92, v56
	v_mul_f16_e32 v92, 0xb1e1, v77
	v_add_f16_e32 v70, v80, v70
	v_fma_f16 v80, v64, s18, v90
	v_fma_f16 v93, v66, s22, -v92
	v_add_f16_e32 v70, v80, v70
	v_fma_f16 v80, v65, s14, v91
	v_add_f16_e32 v56, v93, v56
	v_mul_f16_e32 v93, 0x3b29, v78
	v_add_f16_e32 v70, v80, v70
	v_fma_f16 v80, v66, s22, v92
	v_add_f16_e32 v70, v80, v70
	v_fma_f16 v80, v68, s15, v93
	v_mul_f16_e32 v82, 0xbbb2, v74
	v_add_f16_e32 v81, v80, v70
	v_fma_f16 v70, v60, s19, v82
	v_mul_f16_e32 v83, 0x3836, v67
	v_add_f16_sdwa v70, v70, v1 dst_sel:DWORD dst_unused:UNUSED_PAD src0_sel:DWORD src1_sel:WORD_1
	v_fma_f16 v80, v52, s21, v83
	v_mul_f16_e32 v84, 0x3964, v63
	v_add_f16_e32 v70, v80, v70
	v_fma_f16 v80, v49, s14, v84
	v_mul_f16_e32 v85, 0xbb29, v58
	v_add_f16_e32 v70, v80, v70
	;; [unrolled: 3-line block ×6, first 2 shown]
	v_fma_f16 v80, v41, s20, v89
	v_mul_f16_e32 v90, 0xbbb2, v73
	v_fma_f16 v82, v60, s19, -v82
	v_add_f16_e32 v70, v80, v70
	v_fma_f16 v80, v61, s19, -v90
	v_mul_f16_e32 v91, 0x3836, v71
	v_fma_f16 v83, v52, s21, -v83
	v_add_f16_sdwa v82, v82, v1 dst_sel:DWORD dst_unused:UNUSED_PAD src0_sel:DWORD src1_sel:WORD_1
	v_add_f16_e32 v80, v80, v1
	v_fma_f16 v92, v59, s21, -v91
	v_add_f16_e32 v82, v83, v82
	v_fma_f16 v83, v49, s14, -v84
	v_add_f16_e32 v80, v92, v80
	v_mul_f16_e32 v92, 0x3964, v69
	v_add_f16_e32 v82, v83, v82
	v_fma_f16 v83, v45, s15, -v85
	v_fma_f16 v94, v68, s15, -v93
	v_fma_f16 v93, v57, s14, -v92
	v_add_f16_e32 v82, v83, v82
	v_fma_f16 v83, v44, s22, -v86
	v_add_f16_e32 v80, v93, v80
	v_mul_f16_e32 v93, 0xbb29, v72
	v_add_f16_e32 v82, v83, v82
	v_fma_f16 v83, v43, s18, -v87
	v_add_f16_e32 v56, v94, v56
	v_fma_f16 v94, v62, s15, -v93
	;; [unrolled: 2-line block ×3, first 2 shown]
	v_add_f16_e32 v80, v94, v80
	v_mul_f16_e32 v94, 0xb1e1, v75
	v_add_f16_e32 v82, v83, v82
	v_fma_f16 v83, v41, s20, -v89
	v_fma_f16 v84, v61, s19, v90
	v_fma_f16 v95, v64, s22, -v94
	v_add_f16_e32 v82, v83, v82
	v_fma_f16 v83, v59, s21, v91
	v_add_f16_e32 v84, v84, v1
	v_add_f16_e32 v80, v95, v80
	v_mul_f16_e32 v95, 0x3bf7, v76
	v_add_f16_e32 v83, v83, v84
	v_fma_f16 v84, v57, s14, v92
	v_fma_f16 v96, v65, s18, -v95
	v_add_f16_e32 v83, v84, v83
	v_fma_f16 v84, v62, s15, v93
	v_add_f16_e32 v80, v96, v80
	v_mul_f16_e32 v96, 0xb5c8, v77
	v_add_f16_e32 v83, v84, v83
	v_fma_f16 v84, v64, s22, v94
	v_fma_f16 v97, v66, s7, -v96
	v_add_f16_e32 v83, v84, v83
	v_fma_f16 v84, v65, s18, v95
	v_add_f16_e32 v80, v97, v80
	v_mul_f16_e32 v97, 0xba62, v78
	v_add_f16_e32 v83, v84, v83
	v_fma_f16 v84, v66, s7, v96
	v_add_f16_e32 v83, v84, v83
	v_fma_f16 v84, v68, s20, v97
	v_add_f16_e32 v83, v84, v83
	v_mul_f16_e32 v84, 0xbbf7, v74
	v_fma_f16 v85, v60, s18, v84
	v_mul_f16_e32 v86, 0xb1e1, v67
	v_add_f16_sdwa v85, v85, v1 dst_sel:DWORD dst_unused:UNUSED_PAD src0_sel:DWORD src1_sel:WORD_1
	v_fma_f16 v87, v52, s22, v86
	v_add_f16_e32 v85, v87, v85
	v_mul_f16_e32 v87, 0x3bb2, v63
	v_fma_f16 v88, v49, s19, v87
	v_add_f16_e32 v85, v88, v85
	v_mul_f16_e32 v88, 0x35c8, v58
	;; [unrolled: 3-line block ×7, first 2 shown]
	v_fma_f16 v84, v60, s18, -v84
	v_fma_f16 v94, v61, s18, -v93
	v_mul_f16_e32 v95, 0xb1e1, v71
	v_fma_f16 v86, v52, s22, -v86
	v_add_f16_sdwa v84, v84, v1 dst_sel:DWORD dst_unused:UNUSED_PAD src0_sel:DWORD src1_sel:WORD_1
	v_add_f16_e32 v94, v94, v1
	v_fma_f16 v96, v59, s22, -v95
	v_add_f16_e32 v84, v86, v84
	v_fma_f16 v86, v49, s19, -v87
	v_add_f16_e32 v94, v96, v94
	v_mul_f16_e32 v96, 0x3bb2, v69
	v_add_f16_e32 v84, v86, v84
	v_fma_f16 v86, v45, s7, -v88
	v_fma_f16 v98, v68, s20, -v97
	;; [unrolled: 1-line block ×3, first 2 shown]
	v_add_f16_e32 v84, v86, v84
	v_fma_f16 v86, v44, s15, -v89
	v_add_f16_e32 v94, v97, v94
	v_mul_f16_e32 v97, 0x35c8, v72
	v_add_f16_e32 v84, v86, v84
	v_fma_f16 v86, v43, s21, -v90
	v_add_f16_e32 v80, v98, v80
	v_fma_f16 v98, v62, s7, -v97
	;; [unrolled: 2-line block ×3, first 2 shown]
	v_add_f16_e32 v94, v98, v94
	v_mul_f16_e32 v98, 0xbb29, v75
	v_add_f16_e32 v84, v86, v84
	v_fma_f16 v86, v41, s14, -v92
	v_fma_f16 v87, v61, s18, v93
	v_fma_f16 v99, v64, s15, -v98
	v_add_f16_e32 v84, v86, v84
	v_fma_f16 v86, v59, s22, v95
	v_add_f16_e32 v87, v87, v1
	v_add_f16_e32 v94, v99, v94
	v_mul_f16_e32 v99, 0xb836, v76
	v_add_f16_e32 v86, v86, v87
	v_fma_f16 v87, v57, s19, v96
	v_fma_f16 v100, v65, s21, -v99
	v_add_f16_e32 v86, v87, v86
	v_fma_f16 v87, v62, s7, v97
	v_add_f16_e32 v94, v100, v94
	v_mul_f16_e32 v100, 0x3a62, v77
	v_add_f16_e32 v86, v87, v86
	v_fma_f16 v87, v64, s15, v98
	v_fma_f16 v101, v66, s20, -v100
	v_add_f16_e32 v86, v87, v86
	v_fma_f16 v87, v65, s21, v99
	v_add_f16_e32 v94, v101, v94
	v_mul_f16_e32 v101, 0x3964, v78
	v_add_f16_e32 v86, v87, v86
	v_fma_f16 v87, v66, s20, v100
	v_add_f16_e32 v86, v87, v86
	v_fma_f16 v87, v68, s14, v101
	v_add_f16_e32 v86, v87, v86
	v_mul_f16_e32 v87, 0xbb29, v74
	v_fma_f16 v88, v60, s15, v87
	v_mul_f16_e32 v89, 0xba62, v67
	v_add_f16_sdwa v88, v88, v1 dst_sel:DWORD dst_unused:UNUSED_PAD src0_sel:DWORD src1_sel:WORD_1
	v_fma_f16 v90, v52, s20, v89
	v_add_f16_e32 v88, v90, v88
	v_mul_f16_e32 v90, 0x31e1, v63
	v_fma_f16 v91, v49, s22, v90
	v_add_f16_e32 v88, v91, v88
	v_mul_f16_e32 v91, 0x3bb2, v58
	;; [unrolled: 3-line block ×7, first 2 shown]
	v_fma_f16 v87, v60, s15, -v87
	v_fma_f16 v98, v61, s15, -v97
	v_mul_f16_e32 v99, 0xba62, v71
	v_fma_f16 v89, v52, s20, -v89
	v_add_f16_sdwa v87, v87, v1 dst_sel:DWORD dst_unused:UNUSED_PAD src0_sel:DWORD src1_sel:WORD_1
	v_add_f16_e32 v98, v98, v1
	v_fma_f16 v100, v59, s20, -v99
	v_add_f16_e32 v87, v89, v87
	v_fma_f16 v89, v49, s22, -v90
	v_add_f16_e32 v98, v100, v98
	v_mul_f16_e32 v100, 0x31e1, v69
	v_add_f16_e32 v87, v89, v87
	v_fma_f16 v89, v45, s19, -v91
	v_fma_f16 v102, v68, s14, -v101
	v_fma_f16 v101, v57, s22, -v100
	v_add_f16_e32 v87, v89, v87
	v_fma_f16 v89, v44, s14, -v92
	v_add_f16_e32 v98, v101, v98
	v_mul_f16_e32 v101, 0x3bb2, v72
	v_add_f16_e32 v87, v89, v87
	v_fma_f16 v89, v43, s7, -v93
	v_add_f16_e32 v94, v102, v94
	v_fma_f16 v102, v62, s19, -v101
	;; [unrolled: 2-line block ×3, first 2 shown]
	v_add_f16_e32 v98, v102, v98
	v_mul_f16_e32 v102, 0x3964, v75
	v_add_f16_e32 v87, v89, v87
	v_fma_f16 v89, v41, s21, -v96
	v_fma_f16 v90, v61, s15, v97
	v_fma_f16 v103, v64, s14, -v102
	v_add_f16_e32 v87, v89, v87
	v_fma_f16 v89, v59, s20, v99
	v_add_f16_e32 v90, v90, v1
	v_add_f16_e32 v98, v103, v98
	v_mul_f16_e32 v103, 0xb5c8, v76
	v_add_f16_e32 v89, v89, v90
	v_fma_f16 v90, v57, s22, v100
	v_fma_f16 v104, v65, s7, -v103
	v_add_f16_e32 v89, v90, v89
	v_fma_f16 v90, v62, s19, v101
	v_add_f16_e32 v98, v104, v98
	v_mul_f16_e32 v104, 0xbbf7, v77
	v_add_f16_e32 v89, v90, v89
	v_fma_f16 v90, v64, s14, v102
	v_fma_f16 v105, v66, s18, -v104
	v_add_f16_e32 v89, v90, v89
	v_fma_f16 v90, v65, s7, v103
	v_add_f16_e32 v98, v105, v98
	v_mul_f16_e32 v105, 0xb836, v78
	v_add_f16_e32 v89, v90, v89
	v_fma_f16 v90, v66, s18, v104
	v_add_f16_e32 v89, v90, v89
	v_fma_f16 v90, v68, s21, v105
	v_add_f16_e32 v89, v90, v89
	v_mul_f16_e32 v90, 0xb964, v74
	v_fma_f16 v91, v60, s14, v90
	v_mul_f16_e32 v92, 0xbbf7, v67
	v_add_f16_sdwa v91, v91, v1 dst_sel:DWORD dst_unused:UNUSED_PAD src0_sel:DWORD src1_sel:WORD_1
	v_fma_f16 v93, v52, s18, v92
	v_add_f16_e32 v91, v93, v91
	v_mul_f16_e32 v93, 0xba62, v63
	v_fma_f16 v95, v49, s20, v93
	v_add_f16_e32 v91, v95, v91
	v_mul_f16_e32 v95, 0xb1e1, v58
	;; [unrolled: 3-line block ×7, first 2 shown]
	v_fma_f16 v90, v60, s14, -v90
	v_fma_f16 v102, v61, s14, -v101
	v_mul_f16_e32 v103, 0xbbf7, v71
	v_fma_f16 v92, v52, s18, -v92
	v_add_f16_sdwa v90, v90, v1 dst_sel:DWORD dst_unused:UNUSED_PAD src0_sel:DWORD src1_sel:WORD_1
	v_add_f16_e32 v102, v102, v1
	v_fma_f16 v104, v59, s18, -v103
	v_add_f16_e32 v90, v92, v90
	v_fma_f16 v92, v49, s20, -v93
	v_add_f16_e32 v102, v104, v102
	v_mul_f16_e32 v104, 0xba62, v69
	v_add_f16_e32 v90, v92, v90
	v_fma_f16 v92, v45, s22, -v95
	v_fma_f16 v106, v68, s21, -v105
	;; [unrolled: 1-line block ×3, first 2 shown]
	v_add_f16_e32 v90, v92, v90
	v_fma_f16 v92, v44, s21, -v96
	v_add_f16_e32 v102, v105, v102
	v_mul_f16_e32 v105, 0xb1e1, v72
	v_add_f16_e32 v90, v92, v90
	v_fma_f16 v92, v43, s19, -v97
	v_add_f16_e32 v98, v106, v98
	v_fma_f16 v106, v62, s22, -v105
	;; [unrolled: 2-line block ×3, first 2 shown]
	v_add_f16_e32 v102, v106, v102
	v_mul_f16_e32 v106, 0x3836, v75
	v_add_f16_e32 v90, v92, v90
	v_fma_f16 v92, v41, s7, -v100
	v_fma_f16 v93, v61, s14, v101
	v_fma_f16 v107, v64, s21, -v106
	v_add_f16_e32 v90, v92, v90
	v_fma_f16 v92, v59, s18, v103
	v_add_f16_e32 v93, v93, v1
	v_add_f16_e32 v102, v107, v102
	v_mul_f16_e32 v107, 0x3bb2, v76
	v_add_f16_e32 v92, v92, v93
	v_fma_f16 v93, v57, s20, v104
	v_fma_f16 v108, v65, s19, -v107
	v_add_f16_e32 v92, v93, v92
	v_fma_f16 v93, v62, s22, v105
	v_add_f16_e32 v102, v108, v102
	v_mul_f16_e32 v108, 0x3b29, v77
	v_add_f16_e32 v92, v93, v92
	v_fma_f16 v93, v64, s21, v106
	v_fma_f16 v109, v66, s15, -v108
	v_add_f16_e32 v92, v93, v92
	v_fma_f16 v93, v65, s19, v107
	v_add_f16_e32 v102, v109, v102
	v_mul_f16_e32 v109, 0x35c8, v78
	v_add_f16_e32 v92, v93, v92
	v_fma_f16 v93, v66, s15, v108
	v_add_f16_e32 v92, v93, v92
	v_fma_f16 v93, v68, s7, v109
	v_mul_f16_e32 v74, 0xb5c8, v74
	v_add_f16_e32 v92, v93, v92
	v_mul_f16_e32 v67, 0xb964, v67
	v_fma_f16 v93, v60, s7, v74
	v_add_f16_sdwa v93, v93, v1 dst_sel:DWORD dst_unused:UNUSED_PAD src0_sel:DWORD src1_sel:WORD_1
	v_fma_f16 v95, v52, s14, v67
	v_mul_f16_e32 v63, 0xbb29, v63
	v_add_f16_e32 v93, v95, v93
	v_fma_f16 v95, v49, s15, v63
	v_mul_f16_e32 v58, 0xbbf7, v58
	v_add_f16_e32 v93, v95, v93
	;; [unrolled: 3-line block ×5, first 2 shown]
	v_fma_f16 v95, v42, s21, v51
	v_mul_f16_e32 v50, 0xb1e1, v50
	v_mul_f16_e32 v73, 0xb5c8, v73
	v_fma_f16 v42, v42, s21, -v51
	v_fma_f16 v51, v60, s7, -v74
	v_add_f16_e32 v93, v95, v93
	v_fma_f16 v95, v41, s22, v50
	v_mul_f16_e32 v71, 0xb964, v71
	v_fma_f16 v41, v41, s22, -v50
	v_fma_f16 v50, v52, s14, -v67
	v_add_f16_sdwa v51, v51, v1 dst_sel:DWORD dst_unused:UNUSED_PAD src0_sel:DWORD src1_sel:WORD_1
	v_fma_f16 v52, v61, s7, v73
	v_mul_f16_e32 v69, 0xbb29, v69
	v_fma_f16 v49, v49, s15, -v63
	v_add_f16_e32 v50, v50, v51
	v_fma_f16 v51, v59, s14, v71
	v_add_f16_e32 v52, v52, v1
	v_mul_f16_e32 v72, 0xbbf7, v72
	v_fma_f16 v45, v45, s18, -v58
	v_add_f16_e32 v49, v49, v50
	v_fma_f16 v50, v57, s15, v69
	v_add_f16_e32 v51, v51, v52
	;; [unrolled: 5-line block ×4, first 2 shown]
	v_mul_f16_e32 v77, 0xb836, v77
	v_add_f16_e32 v43, v43, v44
	v_fma_f16 v44, v65, s20, v76
	v_add_f16_e32 v45, v45, v49
	v_mul_f16_e32 v78, 0xb1e1, v78
	v_add_f16_e32 v42, v42, v43
	v_fma_f16 v43, v66, s21, v77
	v_add_f16_e32 v44, v44, v45
	v_add_f16_e32 v93, v95, v93
	v_fma_f16 v95, v61, s7, -v73
	v_add_f16_e32 v41, v41, v42
	v_fma_f16 v42, v68, s22, v78
	v_add_f16_e32 v43, v43, v44
	v_add_f16_e32 v95, v95, v1
	;; [unrolled: 1-line block ×3, first 2 shown]
	v_add_f16_sdwa v43, v46, v1 dst_sel:DWORD dst_unused:UNUSED_PAD src0_sel:DWORD src1_sel:WORD_1
	v_add_f16_e32 v1, v38, v1
	v_add_f16_e32 v1, v1, v33
	;; [unrolled: 1-line block ×12, first 2 shown]
	v_mad_u64_u32 v[5:6], s[10:11], s0, v7, 0
	v_add_f16_e32 v1, v1, v15
	v_add_f16_e32 v1, v1, v14
	;; [unrolled: 1-line block ×6, first 2 shown]
	v_mov_b32_e32 v1, v6
	v_add_f16_e32 v30, v36, v30
	v_mad_u64_u32 v[6:7], s[0:1], s1, v7, v[1:2]
	v_add_f16_e32 v28, v30, v28
	s_mov_b32 s0, 0x226b903
	v_add_f16_e32 v25, v28, v25
	v_mul_hi_u32 v0, v0, s0
	v_add_f16_e32 v21, v25, v21
	v_add_f16_e32 v17, v21, v17
	v_fma_f16 v110, v68, s7, -v109
	s_mul_i32 s7, s9, s17
	s_mul_hi_u32 s9, s8, s17
	v_add_f16_e32 v17, v17, v18
	s_movk_i32 s0, 0x121
	s_add_i32 s9, s9, s7
	v_add_f16_e32 v17, v17, v20
	v_mad_u32_u24 v0, v0, s0, v3
	s_lshl_b64 s[0:1], s[4:5], 2
	v_add_f16_e32 v17, v17, v22
	s_add_u32 s4, s12, s0
	v_add_f16_e32 v17, v17, v24
	s_addc_u32 s5, s13, s1
	s_lshl_b64 s[0:1], s[2:3], 2
	s_mul_i32 s8, s8, s17
	v_add_f16_e32 v17, v17, v26
	s_add_u32 s2, s4, s0
	v_add_f16_e32 v17, v17, v32
	v_mul_lo_u32 v0, v0, s6
	s_addc_u32 s3, s5, s1
	s_lshl_b64 s[0:1], s[8:9], 2
	v_add_f16_e32 v17, v17, v37
	s_add_u32 s0, s2, s0
	v_lshlrev_b64 v[5:6], 2, v[5:6]
	v_add_f16_sdwa v17, v17, v40 dst_sel:WORD_1 dst_unused:UNUSED_PAD src0_sel:DWORD src1_sel:DWORD
	s_addc_u32 s1, s3, s1
	v_or_b32_e32 v7, v17, v9
	v_mov_b32_e32 v1, 0
	v_mov_b32_e32 v3, s1
	v_add_co_u32_e32 v9, vcc, s0, v5
	v_addc_co_u32_e32 v10, vcc, v3, v6, vcc
	v_lshlrev_b64 v[5:6], 2, v[0:1]
	s_mul_i32 s0, s6, 17
	v_add_co_u32_e32 v5, vcc, v9, v5
	v_addc_co_u32_e32 v6, vcc, v10, v6, vcc
	v_add_u32_e32 v0, s0, v0
	global_store_dword v[5:6], v7, off
	v_lshlrev_b64 v[5:6], 2, v[0:1]
	v_pack_b32_f16 v3, v42, v41
	v_add_co_u32_e32 v5, vcc, v9, v5
	v_addc_co_u32_e32 v6, vcc, v10, v6, vcc
	v_add_u32_e32 v0, s0, v0
	global_store_dword v[5:6], v3, off
	v_lshlrev_b64 v[5:6], 2, v[0:1]
	v_pack_b32_f16 v3, v92, v90
	;; [unrolled: 6-line block ×13, first 2 shown]
	v_add_co_u32_e32 v2, vcc, v9, v2
	v_addc_co_u32_e32 v3, vcc, v10, v3, vcc
	v_add_u32_e32 v0, s0, v0
	global_store_dword v[2:3], v4, off
	v_lshlrev_b64 v[2:3], 2, v[0:1]
	v_fma_f16 v96, v59, s14, -v71
	v_add_f16_e32 v95, v96, v95
	v_fma_f16 v96, v57, s15, -v69
	v_add_co_u32_e32 v2, vcc, v9, v2
	v_add_f16_e32 v95, v96, v95
	v_fma_f16 v96, v62, s18, -v72
	v_addc_co_u32_e32 v3, vcc, v10, v3, vcc
	v_pack_b32_f16 v4, v98, v88
	v_add_u32_e32 v0, s0, v0
	v_add_f16_e32 v95, v96, v95
	v_fma_f16 v96, v64, s19, -v75
	global_store_dword v[2:3], v4, off
	v_lshlrev_b64 v[2:3], 2, v[0:1]
	v_add_f16_e32 v95, v96, v95
	v_fma_f16 v96, v65, s20, -v76
	v_add_u32_e32 v0, s0, v0
	v_add_f16_e32 v95, v96, v95
	v_fma_f16 v96, v66, s21, -v77
	v_add_co_u32_e32 v2, vcc, v9, v2
	v_lshlrev_b64 v[0:1], 2, v[0:1]
	v_add_f16_e32 v102, v110, v102
	v_add_f16_e32 v95, v96, v95
	v_fma_f16 v96, v68, s22, -v78
	v_addc_co_u32_e32 v3, vcc, v10, v3, vcc
	v_add_f16_e32 v95, v96, v95
	v_pack_b32_f16 v4, v102, v91
	v_add_co_u32_e32 v0, vcc, v9, v0
	global_store_dword v[2:3], v4, off
	v_addc_co_u32_e32 v1, vcc, v10, v1, vcc
	v_pack_b32_f16 v2, v95, v93
	global_store_dword v[0:1], v2, off
.LBB0_8:
	s_endpgm
	.section	.rodata,"a",@progbits
	.p2align	6, 0x0
	.amdhsa_kernel fft_rtc_back_len289_factors_17_17_wgs_119_tpt_17_half_op_CI_CI_sbrc_z_xy_unaligned_dirReg
		.amdhsa_group_segment_fixed_size 0
		.amdhsa_private_segment_fixed_size 0
		.amdhsa_kernarg_size 104
		.amdhsa_user_sgpr_count 6
		.amdhsa_user_sgpr_private_segment_buffer 1
		.amdhsa_user_sgpr_dispatch_ptr 0
		.amdhsa_user_sgpr_queue_ptr 0
		.amdhsa_user_sgpr_kernarg_segment_ptr 1
		.amdhsa_user_sgpr_dispatch_id 0
		.amdhsa_user_sgpr_flat_scratch_init 0
		.amdhsa_user_sgpr_private_segment_size 0
		.amdhsa_uses_dynamic_stack 0
		.amdhsa_system_sgpr_private_segment_wavefront_offset 0
		.amdhsa_system_sgpr_workgroup_id_x 1
		.amdhsa_system_sgpr_workgroup_id_y 0
		.amdhsa_system_sgpr_workgroup_id_z 0
		.amdhsa_system_sgpr_workgroup_info 0
		.amdhsa_system_vgpr_workitem_id 0
		.amdhsa_next_free_vgpr 111
		.amdhsa_next_free_sgpr 40
		.amdhsa_reserve_vcc 1
		.amdhsa_reserve_flat_scratch 0
		.amdhsa_float_round_mode_32 0
		.amdhsa_float_round_mode_16_64 0
		.amdhsa_float_denorm_mode_32 3
		.amdhsa_float_denorm_mode_16_64 3
		.amdhsa_dx10_clamp 1
		.amdhsa_ieee_mode 1
		.amdhsa_fp16_overflow 0
		.amdhsa_exception_fp_ieee_invalid_op 0
		.amdhsa_exception_fp_denorm_src 0
		.amdhsa_exception_fp_ieee_div_zero 0
		.amdhsa_exception_fp_ieee_overflow 0
		.amdhsa_exception_fp_ieee_underflow 0
		.amdhsa_exception_fp_ieee_inexact 0
		.amdhsa_exception_int_div_zero 0
	.end_amdhsa_kernel
	.text
.Lfunc_end0:
	.size	fft_rtc_back_len289_factors_17_17_wgs_119_tpt_17_half_op_CI_CI_sbrc_z_xy_unaligned_dirReg, .Lfunc_end0-fft_rtc_back_len289_factors_17_17_wgs_119_tpt_17_half_op_CI_CI_sbrc_z_xy_unaligned_dirReg
                                        ; -- End function
	.section	.AMDGPU.csdata,"",@progbits
; Kernel info:
; codeLenInByte = 13944
; NumSgprs: 44
; NumVgprs: 111
; ScratchSize: 0
; MemoryBound: 0
; FloatMode: 240
; IeeeMode: 1
; LDSByteSize: 0 bytes/workgroup (compile time only)
; SGPRBlocks: 5
; VGPRBlocks: 27
; NumSGPRsForWavesPerEU: 44
; NumVGPRsForWavesPerEU: 111
; Occupancy: 2
; WaveLimiterHint : 1
; COMPUTE_PGM_RSRC2:SCRATCH_EN: 0
; COMPUTE_PGM_RSRC2:USER_SGPR: 6
; COMPUTE_PGM_RSRC2:TRAP_HANDLER: 0
; COMPUTE_PGM_RSRC2:TGID_X_EN: 1
; COMPUTE_PGM_RSRC2:TGID_Y_EN: 0
; COMPUTE_PGM_RSRC2:TGID_Z_EN: 0
; COMPUTE_PGM_RSRC2:TIDIG_COMP_CNT: 0
	.type	__hip_cuid_a4c03588d34e454a,@object ; @__hip_cuid_a4c03588d34e454a
	.section	.bss,"aw",@nobits
	.globl	__hip_cuid_a4c03588d34e454a
__hip_cuid_a4c03588d34e454a:
	.byte	0                               ; 0x0
	.size	__hip_cuid_a4c03588d34e454a, 1

	.ident	"AMD clang version 19.0.0git (https://github.com/RadeonOpenCompute/llvm-project roc-6.4.0 25133 c7fe45cf4b819c5991fe208aaa96edf142730f1d)"
	.section	".note.GNU-stack","",@progbits
	.addrsig
	.addrsig_sym __hip_cuid_a4c03588d34e454a
	.amdgpu_metadata
---
amdhsa.kernels:
  - .args:
      - .actual_access:  read_only
        .address_space:  global
        .offset:         0
        .size:           8
        .value_kind:     global_buffer
      - .offset:         8
        .size:           8
        .value_kind:     by_value
      - .actual_access:  read_only
        .address_space:  global
        .offset:         16
        .size:           8
        .value_kind:     global_buffer
      - .actual_access:  read_only
        .address_space:  global
        .offset:         24
        .size:           8
        .value_kind:     global_buffer
      - .actual_access:  read_only
        .address_space:  global
        .offset:         32
        .size:           8
        .value_kind:     global_buffer
      - .offset:         40
        .size:           8
        .value_kind:     by_value
      - .actual_access:  read_only
        .address_space:  global
        .offset:         48
        .size:           8
        .value_kind:     global_buffer
      - .actual_access:  read_only
        .address_space:  global
        .offset:         56
        .size:           8
        .value_kind:     global_buffer
      - .offset:         64
        .size:           4
        .value_kind:     by_value
      - .actual_access:  read_only
        .address_space:  global
        .offset:         72
        .size:           8
        .value_kind:     global_buffer
      - .actual_access:  read_only
        .address_space:  global
        .offset:         80
        .size:           8
        .value_kind:     global_buffer
      - .actual_access:  read_only
        .address_space:  global
        .offset:         88
        .size:           8
        .value_kind:     global_buffer
      - .actual_access:  write_only
        .address_space:  global
        .offset:         96
        .size:           8
        .value_kind:     global_buffer
    .group_segment_fixed_size: 0
    .kernarg_segment_align: 8
    .kernarg_segment_size: 104
    .language:       OpenCL C
    .language_version:
      - 2
      - 0
    .max_flat_workgroup_size: 119
    .name:           fft_rtc_back_len289_factors_17_17_wgs_119_tpt_17_half_op_CI_CI_sbrc_z_xy_unaligned_dirReg
    .private_segment_fixed_size: 0
    .sgpr_count:     44
    .sgpr_spill_count: 0
    .symbol:         fft_rtc_back_len289_factors_17_17_wgs_119_tpt_17_half_op_CI_CI_sbrc_z_xy_unaligned_dirReg.kd
    .uniform_work_group_size: 1
    .uses_dynamic_stack: false
    .vgpr_count:     111
    .vgpr_spill_count: 0
    .wavefront_size: 64
amdhsa.target:   amdgcn-amd-amdhsa--gfx906
amdhsa.version:
  - 1
  - 2
...

	.end_amdgpu_metadata
